;; amdgpu-corpus repo=ROCm/rocFFT kind=compiled arch=gfx906 opt=O3
	.text
	.amdgcn_target "amdgcn-amd-amdhsa--gfx906"
	.amdhsa_code_object_version 6
	.protected	fft_rtc_back_len160_factors_4_10_4_wgs_192_tpt_16_half_op_CI_CI_sbcc_twdbase8_3step_dirReg ; -- Begin function fft_rtc_back_len160_factors_4_10_4_wgs_192_tpt_16_half_op_CI_CI_sbcc_twdbase8_3step_dirReg
	.globl	fft_rtc_back_len160_factors_4_10_4_wgs_192_tpt_16_half_op_CI_CI_sbcc_twdbase8_3step_dirReg
	.p2align	8
	.type	fft_rtc_back_len160_factors_4_10_4_wgs_192_tpt_16_half_op_CI_CI_sbcc_twdbase8_3step_dirReg,@function
fft_rtc_back_len160_factors_4_10_4_wgs_192_tpt_16_half_op_CI_CI_sbcc_twdbase8_3step_dirReg: ; @fft_rtc_back_len160_factors_4_10_4_wgs_192_tpt_16_half_op_CI_CI_sbcc_twdbase8_3step_dirReg
; %bb.0:
	s_load_dwordx4 s[0:3], s[4:5], 0x18
	s_load_dwordx2 s[30:31], s[4:5], 0x28
	s_mov_b32 s7, 0
	s_mov_b64 s[26:27], 0
	s_waitcnt lgkmcnt(0)
	s_load_dwordx2 s[24:25], s[0:1], 0x8
	s_waitcnt lgkmcnt(0)
	s_add_u32 s8, s24, -1
	s_addc_u32 s9, s25, -1
	s_add_u32 s10, 0, 0x55540000
	s_addc_u32 s11, 0, 0x55
	s_mul_hi_u32 s13, s10, -12
	s_add_i32 s11, s11, 0x15555500
	s_sub_i32 s13, s13, s10
	s_mul_i32 s16, s11, -12
	s_mul_i32 s12, s10, -12
	s_add_i32 s13, s13, s16
	s_mul_hi_u32 s14, s11, s12
	s_mul_i32 s15, s11, s12
	s_mul_i32 s17, s10, s13
	s_mul_hi_u32 s12, s10, s12
	s_mul_hi_u32 s16, s10, s13
	s_add_u32 s12, s12, s17
	s_addc_u32 s16, 0, s16
	s_add_u32 s12, s12, s15
	s_mul_hi_u32 s17, s11, s13
	s_addc_u32 s12, s16, s14
	s_addc_u32 s14, s17, 0
	s_mul_i32 s13, s11, s13
	s_add_u32 s12, s12, s13
	v_mov_b32_e32 v1, s12
	s_addc_u32 s13, 0, s14
	v_add_co_u32_e32 v1, vcc, s10, v1
	s_cmp_lg_u64 vcc, 0
	s_addc_u32 s10, s11, s13
	v_readfirstlane_b32 s13, v1
	s_mul_i32 s12, s8, s10
	s_mul_hi_u32 s14, s8, s13
	s_mul_hi_u32 s11, s8, s10
	s_add_u32 s12, s14, s12
	s_addc_u32 s11, 0, s11
	s_mul_hi_u32 s15, s9, s13
	s_mul_i32 s13, s9, s13
	s_add_u32 s12, s12, s13
	s_mul_hi_u32 s14, s9, s10
	s_addc_u32 s11, s11, s15
	s_addc_u32 s12, s14, 0
	s_mul_i32 s10, s9, s10
	s_add_u32 s10, s11, s10
	s_addc_u32 s11, 0, s12
	s_add_u32 s12, s10, 1
	s_addc_u32 s13, s11, 0
	s_add_u32 s14, s10, 2
	s_mul_i32 s16, s11, 12
	s_mul_hi_u32 s17, s10, 12
	s_addc_u32 s15, s11, 0
	s_add_i32 s17, s17, s16
	s_mul_i32 s16, s10, 12
	v_mov_b32_e32 v1, s16
	v_sub_co_u32_e32 v1, vcc, s8, v1
	s_cmp_lg_u64 vcc, 0
	s_subb_u32 s8, s9, s17
	v_subrev_co_u32_e32 v2, vcc, 12, v1
	s_cmp_lg_u64 vcc, 0
	s_subb_u32 s9, s8, 0
	v_readfirstlane_b32 s16, v2
	s_cmp_gt_u32 s16, 11
	s_cselect_b32 s16, -1, 0
	s_cmp_eq_u32 s9, 0
	s_cselect_b32 s9, s16, -1
	s_cmp_lg_u32 s9, 0
	s_cselect_b32 s9, s14, s12
	s_cselect_b32 s12, s15, s13
	v_readfirstlane_b32 s13, v1
	s_cmp_gt_u32 s13, 11
	s_cselect_b32 s13, -1, 0
	s_cmp_eq_u32 s8, 0
	s_cselect_b32 s8, s13, -1
	s_cmp_lg_u32 s8, 0
	s_cselect_b32 s9, s9, s10
	s_cselect_b32 s8, s12, s11
	s_add_u32 s34, s9, 1
	s_addc_u32 s35, s8, 0
	v_mov_b32_e32 v1, s34
	v_mov_b32_e32 v2, s35
	v_cmp_lt_u64_e32 vcc, s[6:7], v[1:2]
	s_cbranch_vccnz .LBB0_2
; %bb.1:
	v_cvt_f32_u32_e32 v1, s34
	s_sub_i32 s8, 0, s34
	s_mov_b32 s27, s7
	v_rcp_iflag_f32_e32 v1, v1
	v_mul_f32_e32 v1, 0x4f7ffffe, v1
	v_cvt_u32_f32_e32 v1, v1
	v_readfirstlane_b32 s9, v1
	s_mul_i32 s8, s8, s9
	s_mul_hi_u32 s8, s9, s8
	s_add_i32 s9, s9, s8
	s_mul_hi_u32 s8, s6, s9
	s_mul_i32 s10, s8, s34
	s_sub_i32 s10, s6, s10
	s_add_i32 s9, s8, 1
	s_sub_i32 s11, s10, s34
	s_cmp_ge_u32 s10, s34
	s_cselect_b32 s8, s9, s8
	s_cselect_b32 s10, s11, s10
	s_add_i32 s9, s8, 1
	s_cmp_ge_u32 s10, s34
	s_cselect_b32 s26, s9, s8
.LBB0_2:
	s_load_dwordx4 s[12:15], s[4:5], 0x60
	s_load_dwordx4 s[20:23], s[2:3], 0x0
	;; [unrolled: 1-line block ×3, first 2 shown]
	s_load_dwordx2 s[28:29], s[4:5], 0x0
	s_load_dwordx4 s[16:19], s[4:5], 0x8
	s_mul_i32 s4, s26, s35
	s_mul_hi_u32 s5, s26, s34
	s_add_i32 s5, s5, s4
	s_mul_i32 s4, s26, s34
	s_sub_u32 s49, s6, s4
	s_subb_u32 s4, 0, s5
	s_mul_i32 s4, s4, 12
	s_mul_hi_u32 s50, s49, 12
	s_add_i32 s50, s50, s4
	s_mul_i32 s49, s49, 12
	s_waitcnt lgkmcnt(0)
	s_mul_i32 s4, s22, s50
	s_mul_hi_u32 s5, s22, s49
	s_add_i32 s4, s5, s4
	s_mul_i32 s5, s23, s49
	s_add_i32 s51, s4, s5
	s_mul_i32 s4, s10, s50
	s_mul_hi_u32 s5, s10, s49
	s_add_i32 s4, s5, s4
	s_mul_i32 s5, s11, s49
	s_add_i32 s33, s4, s5
	v_cmp_lt_u64_e64 s[4:5], s[18:19], 3
	s_mul_i32 s52, s22, s49
	s_mul_i32 s48, s10, s49
	s_and_b64 vcc, exec, s[4:5]
	s_cbranch_vccnz .LBB0_12
; %bb.3:
	s_add_u32 s4, s30, 16
	s_addc_u32 s5, s31, 0
	s_add_u32 s36, s2, 16
	s_addc_u32 s37, s3, 0
	s_add_u32 s38, s0, 16
	v_mov_b32_e32 v1, s18
	s_addc_u32 s39, s1, 0
	s_mov_b64 s[40:41], 2
	s_mov_b32 s42, 0
	v_mov_b32_e32 v2, s19
.LBB0_4:                                ; =>This Inner Loop Header: Depth=1
	s_load_dwordx2 s[44:45], s[38:39], 0x0
	s_waitcnt lgkmcnt(0)
	s_or_b64 s[0:1], s[26:27], s[44:45]
	s_mov_b32 s43, s1
	s_cmp_lg_u64 s[42:43], 0
	s_cbranch_scc0 .LBB0_9
; %bb.5:                                ;   in Loop: Header=BB0_4 Depth=1
	v_cvt_f32_u32_e32 v3, s44
	v_cvt_f32_u32_e32 v4, s45
	s_sub_u32 s0, 0, s44
	s_subb_u32 s1, 0, s45
	v_mac_f32_e32 v3, 0x4f800000, v4
	v_rcp_f32_e32 v3, v3
	v_mul_f32_e32 v3, 0x5f7ffffc, v3
	v_mul_f32_e32 v4, 0x2f800000, v3
	v_trunc_f32_e32 v4, v4
	v_mac_f32_e32 v3, 0xcf800000, v4
	v_cvt_u32_f32_e32 v4, v4
	v_cvt_u32_f32_e32 v3, v3
	v_readfirstlane_b32 s43, v4
	v_readfirstlane_b32 s46, v3
	s_mul_i32 s47, s0, s43
	s_mul_hi_u32 s54, s0, s46
	s_mul_i32 s53, s1, s46
	s_add_i32 s47, s54, s47
	s_mul_i32 s55, s0, s46
	s_add_i32 s47, s47, s53
	s_mul_hi_u32 s53, s46, s47
	s_mul_i32 s54, s46, s47
	s_mul_hi_u32 s46, s46, s55
	s_add_u32 s46, s46, s54
	s_addc_u32 s53, 0, s53
	s_mul_hi_u32 s56, s43, s55
	s_mul_i32 s55, s43, s55
	s_add_u32 s46, s46, s55
	s_mul_hi_u32 s54, s43, s47
	s_addc_u32 s46, s53, s56
	s_addc_u32 s53, s54, 0
	s_mul_i32 s47, s43, s47
	s_add_u32 s46, s46, s47
	s_addc_u32 s47, 0, s53
	v_add_co_u32_e32 v3, vcc, s46, v3
	s_cmp_lg_u64 vcc, 0
	s_addc_u32 s43, s43, s47
	v_readfirstlane_b32 s47, v3
	s_mul_i32 s46, s0, s43
	s_mul_hi_u32 s53, s0, s47
	s_add_i32 s46, s53, s46
	s_mul_i32 s1, s1, s47
	s_add_i32 s46, s46, s1
	s_mul_i32 s0, s0, s47
	s_mul_hi_u32 s53, s43, s0
	s_mul_i32 s54, s43, s0
	s_mul_i32 s56, s47, s46
	s_mul_hi_u32 s0, s47, s0
	s_mul_hi_u32 s55, s47, s46
	s_add_u32 s0, s0, s56
	s_addc_u32 s47, 0, s55
	s_add_u32 s0, s0, s54
	s_mul_hi_u32 s1, s43, s46
	s_addc_u32 s0, s47, s53
	s_addc_u32 s1, s1, 0
	s_mul_i32 s46, s43, s46
	s_add_u32 s0, s0, s46
	s_addc_u32 s1, 0, s1
	v_add_co_u32_e32 v3, vcc, s0, v3
	s_cmp_lg_u64 vcc, 0
	s_addc_u32 s0, s43, s1
	v_readfirstlane_b32 s46, v3
	s_mul_i32 s43, s26, s0
	s_mul_hi_u32 s47, s26, s46
	s_mul_hi_u32 s1, s26, s0
	s_add_u32 s43, s47, s43
	s_addc_u32 s1, 0, s1
	s_mul_hi_u32 s53, s27, s46
	s_mul_i32 s46, s27, s46
	s_add_u32 s43, s43, s46
	s_mul_hi_u32 s47, s27, s0
	s_addc_u32 s1, s1, s53
	s_addc_u32 s43, s47, 0
	s_mul_i32 s0, s27, s0
	s_add_u32 s46, s1, s0
	s_addc_u32 s43, 0, s43
	s_mul_i32 s0, s44, s43
	s_mul_hi_u32 s1, s44, s46
	s_add_i32 s0, s1, s0
	s_mul_i32 s1, s45, s46
	s_add_i32 s47, s0, s1
	s_mul_i32 s1, s44, s46
	v_mov_b32_e32 v3, s1
	s_sub_i32 s0, s27, s47
	v_sub_co_u32_e32 v3, vcc, s26, v3
	s_cmp_lg_u64 vcc, 0
	s_subb_u32 s53, s0, s45
	v_subrev_co_u32_e64 v4, s[0:1], s44, v3
	s_cmp_lg_u64 s[0:1], 0
	s_subb_u32 s0, s53, 0
	s_cmp_ge_u32 s0, s45
	v_readfirstlane_b32 s53, v4
	s_cselect_b32 s1, -1, 0
	s_cmp_ge_u32 s53, s44
	s_cselect_b32 s53, -1, 0
	s_cmp_eq_u32 s0, s45
	s_cselect_b32 s0, s53, s1
	s_add_u32 s1, s46, 1
	s_addc_u32 s53, s43, 0
	s_add_u32 s54, s46, 2
	s_addc_u32 s55, s43, 0
	s_cmp_lg_u32 s0, 0
	s_cselect_b32 s0, s54, s1
	s_cselect_b32 s1, s55, s53
	s_cmp_lg_u64 vcc, 0
	s_subb_u32 s47, s27, s47
	s_cmp_ge_u32 s47, s45
	v_readfirstlane_b32 s54, v3
	s_cselect_b32 s53, -1, 0
	s_cmp_ge_u32 s54, s44
	s_cselect_b32 s54, -1, 0
	s_cmp_eq_u32 s47, s45
	s_cselect_b32 s47, s54, s53
	s_cmp_lg_u32 s47, 0
	s_cselect_b32 s1, s1, s43
	s_cselect_b32 s0, s0, s46
	s_cbranch_execnz .LBB0_7
.LBB0_6:                                ;   in Loop: Header=BB0_4 Depth=1
	v_cvt_f32_u32_e32 v3, s44
	s_sub_i32 s0, 0, s44
	v_rcp_iflag_f32_e32 v3, v3
	v_mul_f32_e32 v3, 0x4f7ffffe, v3
	v_cvt_u32_f32_e32 v3, v3
	v_readfirstlane_b32 s1, v3
	s_mul_i32 s0, s0, s1
	s_mul_hi_u32 s0, s1, s0
	s_add_i32 s1, s1, s0
	s_mul_hi_u32 s0, s26, s1
	s_mul_i32 s43, s0, s44
	s_sub_i32 s43, s26, s43
	s_add_i32 s1, s0, 1
	s_sub_i32 s46, s43, s44
	s_cmp_ge_u32 s43, s44
	s_cselect_b32 s0, s1, s0
	s_cselect_b32 s43, s46, s43
	s_add_i32 s1, s0, 1
	s_cmp_ge_u32 s43, s44
	s_cselect_b32 s0, s1, s0
	s_mov_b32 s1, s42
.LBB0_7:                                ;   in Loop: Header=BB0_4 Depth=1
	s_mul_i32 s35, s44, s35
	s_mul_hi_u32 s43, s44, s34
	s_add_i32 s35, s43, s35
	s_mul_i32 s43, s45, s34
	s_add_i32 s35, s35, s43
	s_mul_i32 s43, s0, s45
	s_mul_hi_u32 s45, s0, s44
	s_load_dwordx2 s[46:47], s[36:37], 0x0
	s_add_i32 s43, s45, s43
	s_mul_i32 s45, s1, s44
	s_mul_i32 s34, s44, s34
	s_add_i32 s43, s43, s45
	s_mul_i32 s44, s0, s44
	s_sub_u32 s44, s26, s44
	s_subb_u32 s43, s27, s43
	s_waitcnt lgkmcnt(0)
	s_mul_i32 s26, s46, s43
	s_mul_hi_u32 s27, s46, s44
	s_add_i32 s45, s27, s26
	s_load_dwordx2 s[26:27], s[4:5], 0x0
	s_mul_i32 s47, s47, s44
	s_add_i32 s45, s45, s47
	s_mul_i32 s46, s46, s44
	s_add_u32 s52, s46, s52
	s_addc_u32 s51, s45, s51
	s_waitcnt lgkmcnt(0)
	s_mul_i32 s43, s26, s43
	s_mul_hi_u32 s45, s26, s44
	s_add_i32 s43, s45, s43
	s_mul_i32 s27, s27, s44
	s_add_i32 s43, s43, s27
	s_mul_i32 s26, s26, s44
	s_add_u32 s48, s26, s48
	s_addc_u32 s33, s43, s33
	s_add_u32 s40, s40, 1
	s_addc_u32 s41, s41, 0
	;; [unrolled: 2-line block ×4, first 2 shown]
	v_cmp_ge_u64_e32 vcc, s[40:41], v[1:2]
	s_add_u32 s38, s38, 8
	s_addc_u32 s39, s39, 0
	s_cbranch_vccnz .LBB0_10
; %bb.8:                                ;   in Loop: Header=BB0_4 Depth=1
	s_mov_b64 s[26:27], s[0:1]
	s_branch .LBB0_4
.LBB0_9:                                ;   in Loop: Header=BB0_4 Depth=1
                                        ; implicit-def: $sgpr0_sgpr1
	s_branch .LBB0_6
.LBB0_10:
	v_mov_b32_e32 v1, s34
	v_mov_b32_e32 v2, s35
	v_cmp_lt_u64_e32 vcc, s[6:7], v[1:2]
	s_mov_b64 s[26:27], 0
	s_cbranch_vccnz .LBB0_12
; %bb.11:
	v_cvt_f32_u32_e32 v1, s34
	s_sub_i32 s0, 0, s34
	v_rcp_iflag_f32_e32 v1, v1
	v_mul_f32_e32 v1, 0x4f7ffffe, v1
	v_cvt_u32_f32_e32 v1, v1
	v_readfirstlane_b32 s1, v1
	s_mul_i32 s0, s0, s1
	s_mul_hi_u32 s0, s1, s0
	s_add_i32 s1, s1, s0
	s_mul_hi_u32 s0, s6, s1
	s_mul_i32 s4, s0, s34
	s_sub_i32 s4, s6, s4
	s_add_i32 s1, s0, 1
	s_sub_i32 s5, s4, s34
	s_cmp_ge_u32 s4, s34
	s_cselect_b32 s0, s1, s0
	s_cselect_b32 s4, s5, s4
	s_add_i32 s1, s0, 1
	s_cmp_ge_u32 s4, s34
	s_cselect_b32 s26, s1, s0
.LBB0_12:
	s_lshl_b64 s[0:1], s[18:19], 3
	s_add_u32 s2, s2, s0
	s_addc_u32 s3, s3, s1
	s_load_dwordx2 s[2:3], s[2:3], 0x0
	v_mul_u32_u24_e32 v1, 0x1556, v0
	v_lshrrev_b32_e32 v9, 16, v1
	v_mul_lo_u16_e32 v1, 12, v9
	v_sub_u16_e32 v11, v0, v1
	s_waitcnt lgkmcnt(0)
	s_mul_i32 s3, s3, s26
	s_mul_hi_u32 s4, s2, s26
	s_mul_i32 s2, s2, s26
	s_add_i32 s4, s4, s3
	s_add_u32 s2, s2, s52
	s_addc_u32 s3, s4, s51
	s_add_u32 s0, s30, s0
	s_addc_u32 s1, s31, s1
	s_load_dwordx2 s[4:5], s[0:1], 0x0
	s_add_u32 s0, s49, 12
	v_mov_b32_e32 v1, s24
	s_addc_u32 s1, s50, 0
	v_mov_b32_e32 v2, s25
	v_mov_b32_e32 v4, s50
	v_cmp_le_u64_e64 s[0:1], s[0:1], v[1:2]
	v_add_co_u32_e32 v3, vcc, s49, v11
	v_addc_co_u32_e32 v4, vcc, 0, v4, vcc
	s_and_b64 vcc, exec, s[0:1]
	v_add_u32_e32 v10, 40, v9
	v_add_u32_e32 v1, 16, v9
	s_cbranch_vccz .LBB0_16
; %bb.13:
	v_mad_u64_u32 v[5:6], s[6:7], s22, v11, 0
	v_mad_u64_u32 v[7:8], s[6:7], s20, v9, 0
	v_mov_b32_e32 v2, v6
	v_mad_u64_u32 v[12:13], s[6:7], s23, v11, v[2:3]
	v_mov_b32_e32 v2, v8
	v_mad_u64_u32 v[13:14], s[6:7], s21, v9, v[2:3]
	s_lshl_b64 s[6:7], s[2:3], 2
	s_add_u32 s18, s12, s6
	s_addc_u32 s6, s13, s7
	v_mov_b32_e32 v6, v12
	v_mov_b32_e32 v2, s6
	v_mad_u64_u32 v[14:15], s[6:7], s20, v10, 0
	v_lshlrev_b64 v[5:6], 2, v[5:6]
	v_mov_b32_e32 v8, v13
	v_add_co_u32_e32 v13, vcc, s18, v5
	v_addc_co_u32_e32 v17, vcc, v2, v6, vcc
	v_mov_b32_e32 v2, v15
	v_lshlrev_b64 v[5:6], 2, v[7:8]
	v_mad_u64_u32 v[7:8], s[6:7], s21, v10, v[2:3]
	v_add_u32_e32 v8, 0x50, v9
	v_mad_u64_u32 v[18:19], s[6:7], s20, v8, 0
	v_mov_b32_e32 v15, v7
	v_add_co_u32_e32 v20, vcc, v13, v5
	v_mov_b32_e32 v2, v19
	v_mad_u64_u32 v[7:8], s[6:7], s21, v8, v[2:3]
	v_add_u32_e32 v8, 0x78, v9
	v_addc_co_u32_e32 v21, vcc, v17, v6, vcc
	v_lshlrev_b64 v[5:6], 2, v[14:15]
	v_mad_u64_u32 v[14:15], s[6:7], s20, v8, 0
	v_add_co_u32_e32 v22, vcc, v13, v5
	v_mov_b32_e32 v19, v7
	v_add_u32_e32 v12, 16, v9
	v_addc_co_u32_e32 v23, vcc, v17, v6, vcc
	v_lshlrev_b64 v[5:6], 2, v[18:19]
	v_mov_b32_e32 v2, v15
	v_mad_u64_u32 v[18:19], s[6:7], s20, v12, 0
	v_mad_u64_u32 v[7:8], s[6:7], s21, v8, v[2:3]
	v_mov_b32_e32 v2, v19
	v_add_co_u32_e32 v24, vcc, v13, v5
	v_mov_b32_e32 v15, v7
	v_mad_u64_u32 v[7:8], s[6:7], s21, v12, v[2:3]
	v_add_u32_e32 v8, 56, v9
	v_addc_co_u32_e32 v25, vcc, v17, v6, vcc
	v_lshlrev_b64 v[5:6], 2, v[14:15]
	v_mad_u64_u32 v[14:15], s[6:7], s20, v8, 0
	v_mov_b32_e32 v19, v7
	v_add_co_u32_e32 v26, vcc, v13, v5
	v_mov_b32_e32 v2, v15
	v_mad_u64_u32 v[7:8], s[6:7], s21, v8, v[2:3]
	v_or_b32_e32 v8, 0x60, v9
	v_addc_co_u32_e32 v27, vcc, v17, v6, vcc
	v_lshlrev_b64 v[5:6], 2, v[18:19]
	v_mad_u64_u32 v[18:19], s[6:7], s20, v8, 0
	v_mov_b32_e32 v15, v7
	v_add_co_u32_e32 v28, vcc, v13, v5
	v_mov_b32_e32 v2, v19
	v_mad_u64_u32 v[7:8], s[6:7], s21, v8, v[2:3]
	v_add_u32_e32 v8, 0x88, v9
	v_addc_co_u32_e32 v29, vcc, v17, v6, vcc
	v_lshlrev_b64 v[5:6], 2, v[14:15]
	v_mad_u64_u32 v[14:15], s[6:7], s20, v8, 0
	v_mov_b32_e32 v19, v7
	v_add_co_u32_e32 v30, vcc, v13, v5
	v_mov_b32_e32 v2, v15
	v_mad_u64_u32 v[7:8], s[6:7], s21, v8, v[2:3]
	v_addc_co_u32_e32 v31, vcc, v17, v6, vcc
	v_lshlrev_b64 v[5:6], 2, v[18:19]
	v_mov_b32_e32 v15, v7
	v_add_co_u32_e32 v18, vcc, v13, v5
	v_addc_co_u32_e32 v19, vcc, v17, v6, vcc
	v_lshlrev_b64 v[5:6], 2, v[14:15]
	s_movk_i32 s6, 0x60
	v_add_co_u32_e32 v32, vcc, v13, v5
	v_addc_co_u32_e32 v33, vcc, v17, v6, vcc
	global_load_dword v6, v[20:21], off
	global_load_dword v2, v[22:23], off
	;; [unrolled: 1-line block ×8, first 2 shown]
	v_cmp_gt_u32_e32 vcc, s6, v0
                                        ; implicit-def: $vgpr19
                                        ; implicit-def: $vgpr18
                                        ; implicit-def: $vgpr21
                                        ; implicit-def: $vgpr20
	s_and_saveexec_b64 s[6:7], vcc
	s_cbranch_execz .LBB0_15
; %bb.14:
	v_or_b32_e32 v22, 32, v9
	v_add_u32_e32 v24, 0x48, v9
	v_mad_u64_u32 v[18:19], s[18:19], s20, v22, 0
	v_mad_u64_u32 v[20:21], s[18:19], s20, v24, 0
	v_or_b32_e32 v26, 0x70, v9
	v_mad_u64_u32 v[22:23], s[18:19], s21, v22, v[19:20]
	v_mov_b32_e32 v19, v22
	v_mad_u64_u32 v[21:22], s[18:19], s21, v24, v[21:22]
	v_mad_u64_u32 v[22:23], s[18:19], s20, v26, 0
	v_lshlrev_b64 v[18:19], 2, v[18:19]
	v_add_co_u32_e32 v24, vcc, v13, v18
	v_addc_co_u32_e32 v25, vcc, v17, v19, vcc
	v_lshlrev_b64 v[18:19], 2, v[20:21]
	v_mov_b32_e32 v20, v23
	v_mad_u64_u32 v[20:21], s[18:19], s21, v26, v[20:21]
	v_add_u32_e32 v21, 0x98, v9
	v_mad_u64_u32 v[26:27], s[18:19], s20, v21, 0
	v_mov_b32_e32 v23, v20
	v_add_co_u32_e32 v28, vcc, v13, v18
	v_mov_b32_e32 v20, v27
	v_mad_u64_u32 v[20:21], s[18:19], s21, v21, v[20:21]
	v_addc_co_u32_e32 v29, vcc, v17, v19, vcc
	v_lshlrev_b64 v[18:19], 2, v[22:23]
	v_mov_b32_e32 v27, v20
	v_add_co_u32_e32 v22, vcc, v13, v18
	v_addc_co_u32_e32 v23, vcc, v17, v19, vcc
	v_lshlrev_b64 v[18:19], 2, v[26:27]
	v_add_co_u32_e32 v26, vcc, v13, v18
	v_addc_co_u32_e32 v27, vcc, v17, v19, vcc
	global_load_dword v20, v[24:25], off
	global_load_dword v18, v[28:29], off
	;; [unrolled: 1-line block ×4, first 2 shown]
.LBB0_15:
	s_or_b64 exec, exec, s[6:7]
	s_cbranch_execz .LBB0_17
	s_branch .LBB0_24
.LBB0_16:
                                        ; implicit-def: $vgpr15
                                        ; implicit-def: $vgpr2
                                        ; implicit-def: $vgpr16
                                        ; implicit-def: $vgpr6
                                        ; implicit-def: $vgpr7
                                        ; implicit-def: $vgpr5
                                        ; implicit-def: $vgpr14
                                        ; implicit-def: $vgpr8
                                        ; implicit-def: $vgpr19
                                        ; implicit-def: $vgpr18
                                        ; implicit-def: $vgpr21
                                        ; implicit-def: $vgpr20
                                        ; implicit-def: $vgpr12
.LBB0_17:
	v_cmp_le_u64_e32 vcc, s[24:25], v[3:4]
                                        ; implicit-def: $vgpr12
	s_and_saveexec_b64 s[6:7], vcc
	s_xor_b64 s[6:7], exec, s[6:7]
; %bb.18:
	v_add_u32_e32 v12, 16, v9
                                        ; implicit-def: $vgpr1
; %bb.19:
	s_or_saveexec_b64 s[6:7], s[6:7]
                                        ; implicit-def: $vgpr15
                                        ; implicit-def: $vgpr2
                                        ; implicit-def: $vgpr16
                                        ; implicit-def: $vgpr6
                                        ; implicit-def: $vgpr7
                                        ; implicit-def: $vgpr5
                                        ; implicit-def: $vgpr14
                                        ; implicit-def: $vgpr8
                                        ; implicit-def: $vgpr19
                                        ; implicit-def: $vgpr18
                                        ; implicit-def: $vgpr21
                                        ; implicit-def: $vgpr20
	s_xor_b64 exec, exec, s[6:7]
	s_cbranch_execz .LBB0_23
; %bb.20:
	s_waitcnt vmcnt(2)
	v_mad_u64_u32 v[5:6], s[18:19], s22, v11, 0
	s_waitcnt vmcnt(0)
	v_mad_u64_u32 v[7:8], s[18:19], s20, v9, 0
	v_mov_b32_e32 v2, v6
	v_mad_u64_u32 v[12:13], s[18:19], s23, v11, v[2:3]
	s_lshl_b64 s[2:3], s[2:3], 2
	v_mov_b32_e32 v2, v8
	s_add_u32 s12, s12, s2
	v_mad_u64_u32 v[13:14], s[18:19], s21, v9, v[2:3]
	s_addc_u32 s2, s13, s3
	v_mov_b32_e32 v6, v12
	v_mov_b32_e32 v2, s2
	v_mad_u64_u32 v[14:15], s[2:3], s20, v10, 0
	v_lshlrev_b64 v[5:6], 2, v[5:6]
	v_mov_b32_e32 v8, v13
	v_add_co_u32_e32 v12, vcc, s12, v5
	v_addc_co_u32_e32 v13, vcc, v2, v6, vcc
	v_mov_b32_e32 v2, v15
	v_lshlrev_b64 v[5:6], 2, v[7:8]
	v_mad_u64_u32 v[7:8], s[2:3], s21, v10, v[2:3]
	v_add_u32_e32 v8, 0x50, v9
	v_mad_u64_u32 v[16:17], s[2:3], s20, v8, 0
	v_mov_b32_e32 v15, v7
	v_add_co_u32_e32 v18, vcc, v12, v5
	v_mov_b32_e32 v2, v17
	v_mad_u64_u32 v[7:8], s[2:3], s21, v8, v[2:3]
	v_add_u32_e32 v8, 0x78, v9
	v_addc_co_u32_e32 v19, vcc, v13, v6, vcc
	v_lshlrev_b64 v[5:6], 2, v[14:15]
	v_mad_u64_u32 v[14:15], s[2:3], s20, v8, 0
	v_add_co_u32_e32 v20, vcc, v12, v5
	v_mov_b32_e32 v17, v7
	v_addc_co_u32_e32 v21, vcc, v13, v6, vcc
	v_lshlrev_b64 v[5:6], 2, v[16:17]
	v_mov_b32_e32 v2, v15
	v_mad_u64_u32 v[16:17], s[2:3], s20, v1, 0
	v_mad_u64_u32 v[7:8], s[2:3], s21, v8, v[2:3]
	v_mov_b32_e32 v2, v17
	v_add_co_u32_e32 v22, vcc, v12, v5
	v_mov_b32_e32 v15, v7
	v_mad_u64_u32 v[7:8], s[2:3], s21, v1, v[2:3]
	v_add_u32_e32 v8, 56, v9
	v_addc_co_u32_e32 v23, vcc, v13, v6, vcc
	v_lshlrev_b64 v[5:6], 2, v[14:15]
	v_mad_u64_u32 v[14:15], s[2:3], s20, v8, 0
	v_mov_b32_e32 v17, v7
	v_add_co_u32_e32 v24, vcc, v12, v5
	v_mov_b32_e32 v2, v15
	v_mad_u64_u32 v[7:8], s[2:3], s21, v8, v[2:3]
	v_or_b32_e32 v8, 0x60, v9
	v_addc_co_u32_e32 v25, vcc, v13, v6, vcc
	v_lshlrev_b64 v[5:6], 2, v[16:17]
	v_mad_u64_u32 v[16:17], s[2:3], s20, v8, 0
	v_mov_b32_e32 v15, v7
	v_add_co_u32_e32 v26, vcc, v12, v5
	v_mov_b32_e32 v2, v17
	v_mad_u64_u32 v[7:8], s[2:3], s21, v8, v[2:3]
	v_add_u32_e32 v8, 0x88, v9
	v_addc_co_u32_e32 v27, vcc, v13, v6, vcc
	v_lshlrev_b64 v[5:6], 2, v[14:15]
	v_mad_u64_u32 v[14:15], s[2:3], s20, v8, 0
	v_mov_b32_e32 v17, v7
	v_add_co_u32_e32 v28, vcc, v12, v5
	v_mov_b32_e32 v2, v15
	v_mad_u64_u32 v[7:8], s[2:3], s21, v8, v[2:3]
	v_addc_co_u32_e32 v29, vcc, v13, v6, vcc
	v_lshlrev_b64 v[5:6], 2, v[16:17]
	v_mov_b32_e32 v15, v7
	v_add_co_u32_e32 v30, vcc, v12, v5
	v_addc_co_u32_e32 v31, vcc, v13, v6, vcc
	v_lshlrev_b64 v[5:6], 2, v[14:15]
	s_movk_i32 s2, 0x60
	v_add_co_u32_e32 v32, vcc, v12, v5
	v_addc_co_u32_e32 v33, vcc, v13, v6, vcc
	global_load_dword v6, v[18:19], off
	global_load_dword v2, v[20:21], off
	;; [unrolled: 1-line block ×8, first 2 shown]
	v_cmp_gt_u32_e32 vcc, s2, v0
                                        ; implicit-def: $vgpr19
                                        ; implicit-def: $vgpr18
                                        ; implicit-def: $vgpr21
                                        ; implicit-def: $vgpr20
	s_and_saveexec_b64 s[2:3], vcc
	s_cbranch_execz .LBB0_22
; %bb.21:
	v_or_b32_e32 v21, 32, v9
	v_add_u32_e32 v23, 0x48, v9
	v_mad_u64_u32 v[17:18], s[12:13], s20, v21, 0
	v_mad_u64_u32 v[19:20], s[12:13], s20, v23, 0
	v_or_b32_e32 v25, 0x70, v9
	v_mad_u64_u32 v[21:22], s[12:13], s21, v21, v[18:19]
	v_mov_b32_e32 v18, v21
	v_mad_u64_u32 v[20:21], s[12:13], s21, v23, v[20:21]
	v_mad_u64_u32 v[21:22], s[12:13], s20, v25, 0
	v_lshlrev_b64 v[17:18], 2, v[17:18]
	v_add_co_u32_e32 v23, vcc, v12, v17
	v_addc_co_u32_e32 v24, vcc, v13, v18, vcc
	v_lshlrev_b64 v[17:18], 2, v[19:20]
	v_mov_b32_e32 v19, v22
	v_mad_u64_u32 v[19:20], s[12:13], s21, v25, v[19:20]
	v_add_u32_e32 v20, 0x98, v9
	v_mad_u64_u32 v[25:26], s[12:13], s20, v20, 0
	v_mov_b32_e32 v22, v19
	v_add_co_u32_e32 v27, vcc, v12, v17
	v_mov_b32_e32 v19, v26
	v_mad_u64_u32 v[19:20], s[12:13], s21, v20, v[19:20]
	v_addc_co_u32_e32 v28, vcc, v13, v18, vcc
	v_lshlrev_b64 v[17:18], 2, v[21:22]
	v_mov_b32_e32 v26, v19
	v_add_co_u32_e32 v29, vcc, v12, v17
	v_addc_co_u32_e32 v30, vcc, v13, v18, vcc
	v_lshlrev_b64 v[17:18], 2, v[25:26]
	v_add_co_u32_e32 v12, vcc, v12, v17
	v_addc_co_u32_e32 v13, vcc, v13, v18, vcc
	global_load_dword v20, v[23:24], off
	global_load_dword v18, v[27:28], off
	;; [unrolled: 1-line block ×4, first 2 shown]
.LBB0_22:
	s_or_b64 exec, exec, s[2:3]
	v_mov_b32_e32 v12, v1
.LBB0_23:
	s_or_b64 exec, exec, s[6:7]
.LBB0_24:
	s_waitcnt vmcnt(5)
	v_pk_add_f16 v16, v6, v16 neg_lo:[0,1] neg_hi:[0,1]
	s_waitcnt vmcnt(4)
	v_pk_add_f16 v15, v2, v15 neg_lo:[0,1] neg_hi:[0,1]
	s_mov_b32 s2, 0xffff
	v_pk_add_f16 v23, v16, v15 op_sel:[0,1] op_sel_hi:[1,0]
	v_pk_add_f16 v24, v16, v15 op_sel:[0,1] op_sel_hi:[1,0] neg_lo:[0,1] neg_hi:[0,1]
	v_pk_fma_f16 v6, v6, 2.0, v16 op_sel_hi:[1,0,1] neg_lo:[0,0,1] neg_hi:[0,0,1]
	v_pk_fma_f16 v2, v2, 2.0, v15 op_sel_hi:[1,0,1] neg_lo:[0,0,1] neg_hi:[0,0,1]
	v_bfi_b32 v23, s2, v23, v24
	v_pk_add_f16 v2, v6, v2 neg_lo:[0,1] neg_hi:[0,1]
	s_waitcnt vmcnt(1)
	v_pk_add_f16 v21, v20, v21 neg_lo:[0,1] neg_hi:[0,1]
	s_waitcnt vmcnt(0)
	v_pk_add_f16 v1, v18, v19 neg_lo:[0,1] neg_hi:[0,1]
	v_pk_fma_f16 v24, v16, 2.0, v23 op_sel_hi:[1,0,1] neg_lo:[0,0,1] neg_hi:[0,0,1]
	v_lshrrev_b32_e32 v15, 16, v6
	v_lshrrev_b32_e32 v16, 16, v2
	s_movk_i32 s2, 0xc0
	v_pk_fma_f16 v19, v20, 2.0, v21 op_sel_hi:[1,0,1] neg_lo:[0,0,1] neg_hi:[0,0,1]
	v_pk_fma_f16 v18, v18, 2.0, v1 op_sel_hi:[1,0,1] neg_lo:[0,0,1] neg_hi:[0,0,1]
	v_pk_add_f16 v13, v21, v1 op_sel:[0,1] op_sel_hi:[1,0]
	v_pk_add_f16 v20, v21, v1 op_sel:[0,1] op_sel_hi:[1,0] neg_lo:[0,1] neg_hi:[0,1]
	v_mul_u32_u24_e32 v1, 48, v9
	v_fma_f16 v15, v15, 2.0, -v16
	v_mul_lo_u32 v16, v12, s2
	v_lshl_add_u32 v17, v1, 2, 0
	v_lshlrev_b32_e32 v1, 2, v11
	v_fma_f16 v6, v6, 2.0, -v2
	v_lshlrev_b32_e32 v15, 16, v15
	v_add_u32_e32 v22, v17, v1
	v_or_b32_sdwa v6, v15, v6 dst_sel:DWORD dst_unused:UNUSED_PAD src0_sel:DWORD src1_sel:WORD_0
	v_pk_add_f16 v14, v8, v14 neg_lo:[0,1] neg_hi:[0,1]
	v_pk_add_f16 v7, v5, v7 neg_lo:[0,1] neg_hi:[0,1]
	ds_write2_b32 v22, v6, v24 offset1:12
	ds_write2_b32 v22, v2, v23 offset0:24 offset1:36
	v_alignbit_b32 v15, s0, v7, 16
	v_alignbit_b32 v22, s0, v14, 16
	v_add_u32_e32 v6, 0, v16
	v_pk_fma_f16 v8, v8, 2.0, v14 op_sel_hi:[1,0,1] neg_lo:[0,0,1] neg_hi:[0,0,1]
	v_pk_fma_f16 v5, v5, 2.0, v7 op_sel_hi:[1,0,1] neg_lo:[0,0,1] neg_hi:[0,0,1]
	v_pk_add_f16 v15, v14, v15
	v_lshrrev_b32_e32 v16, 16, v14
	v_pk_add_f16 v7, v22, v7 neg_lo:[0,1] neg_hi:[0,1]
	v_pk_add_f16 v5, v8, v5 neg_lo:[0,1] neg_hi:[0,1]
	v_fma_f16 v14, v14, 2.0, -v15
	v_fma_f16 v16, v16, 2.0, -v7
	v_add_u32_e32 v2, v6, v1
	v_pk_fma_f16 v8, v8, 2.0, v5 op_sel_hi:[1,0,1] neg_lo:[0,0,1] neg_hi:[0,0,1]
	v_pack_b32_f16 v14, v14, v16
	s_movk_i32 s2, 0x60
	s_movk_i32 s6, 0x5f
	ds_write2_b32 v2, v8, v14 offset1:12
	v_pack_b32_f16 v7, v15, v7
	v_cmp_gt_u32_e64 s[2:3], s2, v0
	v_cmp_lt_u32_e32 vcc, s6, v0
	v_lshrrev_b32_e32 v14, 16, v20
	ds_write2_b32 v2, v5, v7 offset0:24 offset1:36
	s_and_saveexec_b64 s[6:7], vcc
	s_xor_b64 s[6:7], exec, s[6:7]
; %bb.25:
                                        ; implicit-def: $vgpr20
                                        ; implicit-def: $vgpr21
; %bb.26:
	s_or_saveexec_b64 s[6:7], s[6:7]
	v_pk_add_f16 v15, v19, v18 neg_lo:[0,1] neg_hi:[0,1]
	s_xor_b64 exec, exec, s[6:7]
	s_cbranch_execz .LBB0_28
; %bb.27:
	s_mov_b32 s12, 0xffff
	v_bfi_b32 v0, s12, v13, v20
	v_lshl_add_u32 v2, v11, 2, v17
	v_pk_fma_f16 v5, v19, 2.0, v15 op_sel_hi:[1,0,1] neg_lo:[0,0,1] neg_hi:[0,0,1]
	v_pk_fma_f16 v7, v21, 2.0, v0 op_sel_hi:[1,0,1] neg_lo:[0,0,1] neg_hi:[0,0,1]
	v_add_u32_e32 v2, 0x1800, v2
	ds_write2_b32 v2, v5, v7 offset1:12
	ds_write2_b32 v2, v15, v0 offset0:24 offset1:36
.LBB0_28:
	s_or_b64 exec, exec, s[6:7]
	v_and_b32_e32 v0, 3, v9
	v_mul_u32_u24_e32 v2, 9, v0
	v_lshlrev_b32_e32 v2, 2, v2
	s_waitcnt lgkmcnt(0)
	s_barrier
	global_load_dwordx4 v[18:21], v2, s[28:29] offset:16
	global_load_dwordx4 v[22:25], v2, s[28:29]
	global_load_dword v5, v2, s[28:29] offset:32
	s_movk_i32 s19, 0xff70
	v_mul_lo_u32 v30, v12, s19
	v_mul_i32_i24_e32 v2, 0xffffff70, v9
	v_add3_u32 v2, v17, v2, v1
	ds_read2st64_b32 v[7:8], v2 offset0:15 offset1:18
	ds_read2st64_b32 v[16:17], v2 offset0:21 offset1:24
	;; [unrolled: 1-line block ×3, first 2 shown]
	ds_read2st64_b32 v[28:29], v2 offset1:6
	v_add3_u32 v30, v6, v30, v1
	ds_read_b32 v6, v30
	ds_read_b32 v31, v2 offset:6912
	s_waitcnt lgkmcnt(5)
	v_lshrrev_b32_e32 v32, 16, v8
	s_waitcnt lgkmcnt(4)
	v_lshrrev_b32_e32 v33, 16, v16
	v_lshrrev_b32_e32 v34, 16, v17
	s_waitcnt lgkmcnt(3)
	v_lshrrev_b32_e32 v36, 16, v26
	;; [unrolled: 3-line block ×3, first 2 shown]
	s_waitcnt lgkmcnt(0)
	v_lshrrev_b32_e32 v41, 16, v31
	v_lshrrev_b32_e32 v35, 16, v7
	;; [unrolled: 1-line block ×3, first 2 shown]
	s_mov_b32 s18, 0xbb9c
	s_movk_i32 s7, 0x3b9c
	s_mov_b32 s13, 0xb8b4
	s_movk_i32 s6, 0x38b4
	v_lshrrev_b32_e32 v39, 16, v28
	s_movk_i32 s12, 0x34f2
	s_waitcnt vmcnt(0)
	s_barrier
	v_mul_f16_sdwa v44, v32, v19 dst_sel:DWORD dst_unused:UNUSED_PAD src0_sel:DWORD src1_sel:WORD_1
	v_mul_f16_sdwa v45, v8, v19 dst_sel:DWORD dst_unused:UNUSED_PAD src0_sel:DWORD src1_sel:WORD_1
	;; [unrolled: 1-line block ×6, first 2 shown]
	v_mul_f16_sdwa v50, v24, v36 dst_sel:DWORD dst_unused:UNUSED_PAD src0_sel:WORD_1 src1_sel:DWORD
	v_mul_f16_sdwa v52, v25, v37 dst_sel:DWORD dst_unused:UNUSED_PAD src0_sel:WORD_1 src1_sel:DWORD
	;; [unrolled: 1-line block ×6, first 2 shown]
	v_mul_f16_sdwa v58, v41, v5 dst_sel:DWORD dst_unused:UNUSED_PAD src0_sel:DWORD src1_sel:WORD_1
	v_fma_f16 v8, v8, v19, v44
	v_fma_f16 v19, v32, v19, -v45
	v_fma_f16 v32, v33, v20, -v47
	v_fma_f16 v16, v16, v20, v46
	v_fma_f16 v17, v17, v21, v48
	v_fma_f16 v20, v34, v21, -v49
	v_fma_f16 v21, v24, v26, v50
	v_fma_f16 v26, v25, v27, v52
	v_fma_f16 v27, v23, v38, -v56
	v_fma_f16 v23, v23, v29, v57
	v_mul_f16_sdwa v42, v18, v35 dst_sel:DWORD dst_unused:UNUSED_PAD src0_sel:WORD_1 src1_sel:DWORD
	v_mul_f16_sdwa v43, v18, v7 dst_sel:DWORD dst_unused:UNUSED_PAD src0_sel:WORD_1 src1_sel:DWORD
	;; [unrolled: 1-line block ×4, first 2 shown]
	v_mul_f16_sdwa v59, v31, v5 dst_sel:DWORD dst_unused:UNUSED_PAD src0_sel:DWORD src1_sel:WORD_1
	v_fma_f16 v29, v31, v5, v58
	v_add_f16_e32 v31, v26, v8
	v_add_f16_e32 v34, v28, v23
	v_fma_f16 v7, v18, v7, v42
	v_fma_f16 v18, v18, v35, -v43
	v_fma_f16 v6, v22, v6, v54
	v_fma_f16 v22, v22, v40, -v55
	v_fma_f16 v24, v24, v36, -v51
	;; [unrolled: 1-line block ×3, first 2 shown]
	v_add_f16_e32 v33, v23, v17
	v_sub_f16_e32 v35, v23, v26
	v_sub_f16_e32 v36, v17, v8
	;; [unrolled: 1-line block ×3, first 2 shown]
	v_fma_f16 v31, v31, -0.5, v28
	v_add_f16_e32 v34, v34, v26
	v_fma_f16 v5, v41, v5, -v59
	v_sub_f16_e32 v41, v25, v19
	v_fma_f16 v28, v33, -0.5, v28
	v_add_f16_e32 v33, v35, v36
	v_fma_f16 v36, v40, s18, v31
	v_fma_f16 v31, v40, s7, v31
	v_add_f16_e32 v34, v34, v8
	v_sub_f16_e32 v37, v26, v23
	v_sub_f16_e32 v38, v8, v17
	v_fma_f16 v36, v41, s13, v36
	v_fma_f16 v31, v41, s6, v31
	v_add_f16_e32 v34, v34, v17
	v_sub_f16_e32 v17, v23, v17
	v_sub_f16_e32 v8, v26, v8
	;; [unrolled: 1-line block ×4, first 2 shown]
	v_fma_f16 v36, v33, s12, v36
	v_fma_f16 v31, v33, s12, v31
	;; [unrolled: 1-line block ×4, first 2 shown]
	v_add_f16_e32 v23, v23, v26
	v_add_f16_e32 v26, v25, v19
	;; [unrolled: 1-line block ×3, first 2 shown]
	v_fma_f16 v33, v40, s13, v33
	v_fma_f16 v28, v40, s6, v28
	v_fma_f16 v26, v26, -0.5, v39
	v_fma_f16 v33, v35, s12, v33
	v_fma_f16 v28, v35, s12, v28
	;; [unrolled: 1-line block ×6, first 2 shown]
	v_add_f16_e32 v37, v39, v27
	v_fma_f16 v35, v23, s12, v35
	v_fma_f16 v23, v23, s12, v26
	v_add_f16_e32 v26, v27, v20
	v_add_f16_e32 v37, v37, v25
	v_fma_f16 v26, v26, -0.5, v39
	v_sub_f16_e32 v25, v25, v27
	v_add_f16_e32 v27, v37, v19
	v_add_f16_e32 v27, v27, v20
	v_sub_f16_e32 v19, v19, v20
	v_fma_f16 v20, v8, s18, v26
	v_fma_f16 v8, v8, s7, v26
	v_add_f16_e32 v19, v25, v19
	v_fma_f16 v20, v17, s6, v20
	v_fma_f16 v8, v17, s13, v8
	;; [unrolled: 1-line block ×4, first 2 shown]
	v_sub_f16_e32 v17, v21, v7
	v_sub_f16_e32 v19, v29, v16
	v_add_f16_e32 v17, v17, v19
	v_add_f16_e32 v19, v7, v16
	v_fma_f16 v19, v19, -0.5, v6
	v_sub_f16_e32 v25, v24, v5
	v_fma_f16 v26, v25, s18, v19
	v_sub_f16_e32 v37, v18, v32
	v_fma_f16 v19, v25, s7, v19
	v_fma_f16 v26, v37, s13, v26
	v_fma_f16 v19, v37, s6, v19
	v_fma_f16 v26, v17, s12, v26
	v_fma_f16 v17, v17, s12, v19
	v_sub_f16_e32 v19, v7, v21
	v_sub_f16_e32 v38, v16, v29
	v_add_f16_e32 v19, v19, v38
	v_add_f16_e32 v38, v21, v29
	v_fma_f16 v38, v38, -0.5, v6
	v_fma_f16 v39, v37, s7, v38
	v_fma_f16 v37, v37, s18, v38
	v_add_f16_e32 v6, v6, v21
	v_fma_f16 v38, v25, s13, v39
	v_fma_f16 v25, v25, s6, v37
	v_add_f16_e32 v6, v6, v7
	;; [unrolled: 3-line block ×3, first 2 shown]
	v_sub_f16_e32 v7, v7, v16
	v_sub_f16_e32 v16, v24, v18
	;; [unrolled: 1-line block ×3, first 2 shown]
	v_add_f16_e32 v16, v16, v25
	v_add_f16_e32 v25, v18, v32
	v_sub_f16_e32 v21, v21, v29
	v_fma_f16 v25, v25, -0.5, v22
	v_add_f16_e32 v6, v6, v29
	v_fma_f16 v29, v21, s7, v25
	v_fma_f16 v25, v21, s18, v25
	;; [unrolled: 1-line block ×6, first 2 shown]
	v_add_f16_e32 v25, v24, v5
	v_fma_f16 v25, v25, -0.5, v22
	v_add_f16_e32 v22, v22, v24
	v_add_f16_e32 v22, v22, v18
	;; [unrolled: 1-line block ×3, first 2 shown]
	v_sub_f16_e32 v18, v18, v24
	v_add_f16_e32 v22, v22, v5
	v_sub_f16_e32 v5, v32, v5
	v_add_f16_e32 v5, v18, v5
	v_fma_f16 v18, v7, s18, v25
	v_fma_f16 v7, v7, s7, v25
	;; [unrolled: 1-line block ×6, first 2 shown]
	v_mul_f16_e32 v21, 0xb8b4, v29
	s_movk_i32 s13, 0x3a79
	v_mul_f16_e32 v24, 0x3a79, v29
	v_mul_f16_e32 v25, 0xbb9c, v18
	;; [unrolled: 1-line block ×3, first 2 shown]
	v_fma_f16 v21, v26, s13, v21
	v_fma_f16 v24, v26, s6, v24
	;; [unrolled: 1-line block ×4, first 2 shown]
	v_mul_f16_e32 v18, 0xbb9c, v5
	s_mov_b32 s12, 0xb4f2
	v_mul_f16_e32 v5, 0xb4f2, v5
	v_fma_f16 v18, v19, s12, v18
	v_fma_f16 v5, v19, s7, v5
	v_mul_f16_e32 v19, 0xb8b4, v16
	s_mov_b32 s7, 0xba79
	v_fma_f16 v19, v17, s7, v19
	v_mul_f16_e32 v16, 0xba79, v16
	v_add_f16_e32 v7, v34, v6
	v_fma_f16 v29, v17, s6, v16
	v_add_f16_e32 v32, v36, v21
	v_sub_f16_e32 v6, v34, v6
	v_add_f16_e32 v34, v33, v25
	v_sub_f16_e32 v21, v36, v21
	;; [unrolled: 2-line block ×4, first 2 shown]
	v_sub_f16_e32 v18, v31, v19
	v_add_f16_e32 v31, v35, v24
	v_sub_f16_e32 v24, v35, v24
	v_add_f16_e32 v35, v8, v5
	v_sub_f16_e32 v17, v8, v5
	v_lshrrev_b32_e32 v5, 2, v9
	v_mul_u32_u24_e32 v5, 40, v5
	v_or_b32_e32 v0, v5, v0
	v_add_f16_e32 v28, v27, v22
	v_mul_u32_u24_e32 v0, 48, v0
	v_sub_f16_e32 v22, v27, v22
	v_add_f16_e32 v27, v20, v26
	v_add3_u32 v0, 0, v0, v1
	v_pack_b32_f16 v1, v7, v28
	v_pack_b32_f16 v5, v32, v31
	v_sub_f16_e32 v20, v20, v26
	v_add_f16_e32 v26, v23, v29
	ds_write2_b32 v0, v1, v5 offset1:48
	v_pack_b32_f16 v1, v34, v27
	v_pack_b32_f16 v5, v36, v35
	ds_write2_b32 v0, v1, v5 offset0:96 offset1:144
	v_pack_b32_f16 v1, v33, v26
	v_pack_b32_f16 v5, v6, v22
	v_sub_f16_e32 v19, v23, v29
	ds_write2_b32 v0, v1, v5 offset0:192 offset1:240
	v_pack_b32_f16 v1, v21, v24
	v_pack_b32_f16 v5, v25, v20
	v_add_u32_e32 v0, 0x400, v0
	ds_write2_b32 v0, v1, v5 offset0:32 offset1:80
	v_pack_b32_f16 v1, v16, v17
	v_pack_b32_f16 v5, v18, v19
	v_add_u32_e32 v7, 0x80, v2
	ds_write2_b32 v0, v1, v5 offset0:128 offset1:176
	s_waitcnt lgkmcnt(0)
	s_barrier
	ds_read2st64_b32 v[0:1], v7 offset0:7 offset1:10
	ds_read2st64_b32 v[5:6], v2 offset0:15 offset1:18
	;; [unrolled: 1-line block ×3, first 2 shown]
	ds_read_b32 v22, v2
	ds_read_b32 v21, v30
	s_and_saveexec_b64 s[6:7], s[2:3]
	s_cbranch_execz .LBB0_30
; %bb.29:
	v_add_u32_e32 v13, 0x600, v2
	ds_read_b32 v16, v13
	ds_read_b32 v13, v2 offset:7296
	ds_read_b32 v18, v2 offset:3456
	;; [unrolled: 1-line block ×3, first 2 shown]
	s_waitcnt lgkmcnt(3)
	v_lshrrev_b32_e32 v17, 16, v16
	s_waitcnt lgkmcnt(2)
	v_lshrrev_b32_e32 v14, 16, v13
	;; [unrolled: 2-line block ×3, first 2 shown]
.LBB0_30:
	s_or_b64 exec, exec, s[6:7]
	v_mul_u32_u24_e32 v2, 3, v9
	v_lshlrev_b32_e32 v2, 2, v2
	global_load_dwordx3 v[26:28], v2, s[28:29] offset:144
	v_mul_lo_u32 v23, v3, v9
	v_mov_b32_e32 v2, 2
	s_movk_i32 s6, 0xcd
	s_waitcnt lgkmcnt(2)
	v_lshrrev_b32_e32 v41, 16, v7
	v_lshlrev_b32_sdwa v20, v2, v23 dst_sel:DWORD dst_unused:UNUSED_PAD src0_sel:DWORD src1_sel:BYTE_0
	v_lshlrev_b32_sdwa v25, v2, v23 dst_sel:DWORD dst_unused:UNUSED_PAD src0_sel:DWORD src1_sel:BYTE_1
	v_lshlrev_b32_sdwa v23, v2, v23 dst_sel:DWORD dst_unused:UNUSED_PAD src0_sel:DWORD src1_sel:BYTE_2
	global_load_dword v24, v20, s[16:17]
	global_load_dword v34, v23, s[16:17] offset:2048
	v_mul_lo_u16_sdwa v20, v12, s6 dst_sel:DWORD dst_unused:UNUSED_PAD src0_sel:BYTE_0 src1_sel:DWORD
	global_load_dword v32, v25, s[16:17] offset:1024
	v_lshrrev_b16_e32 v20, 13, v20
	v_mul_lo_u16_e32 v25, 40, v20
	v_sub_u16_e32 v25, v12, v25
	v_and_b32_e32 v33, 0xff, v25
	v_mul_u32_u24_e32 v23, 3, v33
	v_lshlrev_b32_e32 v23, 2, v23
	global_load_dwordx3 v[29:31], v23, s[28:29] offset:144
	v_mul_lo_u32 v23, v3, v10
	v_lshrrev_b32_e32 v42, 16, v5
	v_lshrrev_b32_e32 v43, 16, v0
	s_waitcnt lgkmcnt(1)
	v_lshrrev_b32_e32 v38, 16, v22
	v_lshlrev_b32_sdwa v25, v2, v23 dst_sel:DWORD dst_unused:UNUSED_PAD src0_sel:DWORD src1_sel:BYTE_0
	v_lshlrev_b32_sdwa v35, v2, v23 dst_sel:DWORD dst_unused:UNUSED_PAD src0_sel:DWORD src1_sel:BYTE_1
	global_load_dword v36, v25, s[16:17]
	global_load_dword v37, v35, s[16:17] offset:1024
	v_lshlrev_b32_sdwa v23, v2, v23 dst_sel:DWORD dst_unused:UNUSED_PAD src0_sel:DWORD src1_sel:BYTE_2
	global_load_dword v35, v23, s[16:17] offset:2048
	v_add_u32_e32 v23, 0x50, v9
	v_mul_lo_u32 v44, v3, v23
	v_add_u32_e32 v25, 0x78, v9
	v_mul_lo_u32 v46, v3, v25
	v_lshrrev_b32_e32 v39, 16, v8
	v_lshlrev_b32_sdwa v47, v2, v44 dst_sel:DWORD dst_unused:UNUSED_PAD src0_sel:DWORD src1_sel:BYTE_0
	v_lshlrev_b32_sdwa v48, v2, v44 dst_sel:DWORD dst_unused:UNUSED_PAD src0_sel:DWORD src1_sel:BYTE_1
	global_load_dword v50, v47, s[16:17]
	global_load_dword v51, v48, s[16:17] offset:1024
	v_lshlrev_b32_sdwa v44, v2, v44 dst_sel:DWORD dst_unused:UNUSED_PAD src0_sel:DWORD src1_sel:BYTE_2
	global_load_dword v44, v44, s[16:17] offset:2048
	v_lshlrev_b32_sdwa v49, v2, v46 dst_sel:DWORD dst_unused:UNUSED_PAD src0_sel:DWORD src1_sel:BYTE_0
	v_lshlrev_b32_sdwa v47, v2, v46 dst_sel:DWORD dst_unused:UNUSED_PAD src0_sel:DWORD src1_sel:BYTE_1
	v_lshlrev_b32_sdwa v46, v2, v46 dst_sel:DWORD dst_unused:UNUSED_PAD src0_sel:DWORD src1_sel:BYTE_2
	v_lshrrev_b32_e32 v40, 16, v6
	v_lshrrev_b32_e32 v45, 16, v1
	s_mul_i32 s5, s5, s26
	s_mul_hi_u32 s6, s4, s26
	s_add_i32 s6, s6, s5
	s_mul_i32 s4, s4, s26
	s_add_u32 s4, s4, s48
	s_addc_u32 s5, s6, s33
	s_andn2_b64 vcc, exec, s[0:1]
	s_movk_i32 s0, 0x78
	s_waitcnt vmcnt(10)
	v_mul_f16_sdwa v52, v26, v0 dst_sel:DWORD dst_unused:UNUSED_PAD src0_sel:WORD_1 src1_sel:DWORD
	v_mul_f16_sdwa v54, v27, v5 dst_sel:DWORD dst_unused:UNUSED_PAD src0_sel:WORD_1 src1_sel:DWORD
	;; [unrolled: 1-line block ×6, first 2 shown]
	v_fma_f16 v43, v26, v43, -v52
	v_fma_f16 v42, v27, v42, -v54
	v_fma_f16 v41, v28, v41, -v55
	v_fma_f16 v0, v26, v0, v48
	v_fma_f16 v5, v27, v5, v53
	v_sub_f16_e32 v26, v38, v42
	v_sub_f16_e32 v27, v43, v41
	global_load_dword v41, v49, s[16:17]
	global_load_dword v42, v47, s[16:17] offset:1024
	v_fma_f16 v7, v28, v7, v56
	global_load_dword v46, v46, s[16:17] offset:2048
	s_waitcnt vmcnt(12)
	v_lshrrev_b32_e32 v28, 16, v24
	s_waitcnt vmcnt(10)
	v_mul_f16_sdwa v47, v24, v32 dst_sel:DWORD dst_unused:UNUSED_PAD src0_sel:DWORD src1_sel:WORD_1
	v_sub_f16_e32 v5, v22, v5
	v_sub_f16_e32 v7, v0, v7
	v_fma_f16 v47, v28, v32, v47
	v_mul_f16_sdwa v28, v28, v32 dst_sel:DWORD dst_unused:UNUSED_PAD src0_sel:DWORD src1_sel:WORD_1
	s_waitcnt vmcnt(9)
	v_mul_f16_sdwa v49, v30, v40 dst_sel:DWORD dst_unused:UNUSED_PAD src0_sel:WORD_1 src1_sel:DWORD
	v_mul_f16_sdwa v53, v31, v39 dst_sel:DWORD dst_unused:UNUSED_PAD src0_sel:WORD_1 src1_sel:DWORD
	v_fma_f16 v22, v22, 2.0, -v5
	v_fma_f16 v38, v38, 2.0, -v26
	;; [unrolled: 1-line block ×3, first 2 shown]
	v_fma_f16 v24, v24, v32, -v28
	v_mul_f16_sdwa v28, v47, v34 dst_sel:DWORD dst_unused:UNUSED_PAD src0_sel:DWORD src1_sel:WORD_1
	v_mul_f16_sdwa v32, v29, v45 dst_sel:DWORD dst_unused:UNUSED_PAD src0_sel:WORD_1 src1_sel:DWORD
	v_mul_f16_sdwa v48, v29, v1 dst_sel:DWORD dst_unused:UNUSED_PAD src0_sel:WORD_1 src1_sel:DWORD
	;; [unrolled: 1-line block ×4, first 2 shown]
	v_fma_f16 v6, v30, v6, v49
	v_fma_f16 v49, v31, v8, v53
	v_fma_f16 v8, v43, 2.0, -v27
	v_fma_f16 v28, v34, v24, -v28
	v_mul_f16_sdwa v24, v24, v34 dst_sel:DWORD dst_unused:UNUSED_PAD src0_sel:DWORD src1_sel:WORD_1
	v_fma_f16 v55, v29, v1, v32
	v_fma_f16 v45, v29, v45, -v48
	v_sub_f16_e32 v0, v22, v0
	v_sub_f16_e32 v29, v38, v8
	v_fma_f16 v1, v34, v47, v24
	v_fma_f16 v22, v22, 2.0, -v0
	v_fma_f16 v24, v38, 2.0, -v29
	v_mul_f16_e32 v8, v24, v1
	v_mul_f16_e32 v1, v22, v1
	v_fma_f16 v8, v22, v28, v8
	v_fma_f16 v22, v24, v28, -v1
	s_waitcnt vmcnt(8)
	v_lshrrev_b32_e32 v1, 16, v36
	s_waitcnt vmcnt(7)
	v_mul_f16_sdwa v28, v36, v37 dst_sel:DWORD dst_unused:UNUSED_PAD src0_sel:DWORD src1_sel:WORD_1
	v_mul_f16_sdwa v24, v1, v37 dst_sel:DWORD dst_unused:UNUSED_PAD src0_sel:DWORD src1_sel:WORD_1
	v_fma_f16 v1, v1, v37, v28
	v_fma_f16 v48, v30, v40, -v52
	v_fma_f16 v24, v36, v37, -v24
	s_waitcnt vmcnt(6)
	v_mul_f16_sdwa v30, v1, v35 dst_sel:DWORD dst_unused:UNUSED_PAD src0_sel:DWORD src1_sel:WORD_1
	v_fma_f16 v30, v35, v24, -v30
	v_mul_f16_sdwa v24, v24, v35 dst_sel:DWORD dst_unused:UNUSED_PAD src0_sel:DWORD src1_sel:WORD_1
	v_sub_f16_e32 v7, v26, v7
	v_fma_f16 v1, v35, v1, v24
	v_add_f16_e32 v34, v5, v27
	v_fma_f16 v26, v26, 2.0, -v7
	v_fma_f16 v5, v5, 2.0, -v34
	v_mul_f16_e32 v24, v26, v1
	v_mul_lo_u32 v28, v3, v33
	v_fma_f16 v24, v5, v30, v24
	v_mul_f16_e32 v1, v5, v1
	v_add_u32_e32 v5, 40, v33
	v_mul_lo_u32 v5, v3, v5
	v_fma_f16 v26, v26, v30, -v1
	s_waitcnt vmcnt(5)
	v_lshrrev_b32_e32 v1, 16, v50
	s_waitcnt vmcnt(4)
	v_mul_f16_sdwa v30, v50, v51 dst_sel:DWORD dst_unused:UNUSED_PAD src0_sel:DWORD src1_sel:WORD_1
	v_fma_f16 v52, v31, v39, -v54
	v_lshlrev_b32_sdwa v31, v2, v28 dst_sel:DWORD dst_unused:UNUSED_PAD src0_sel:DWORD src1_sel:BYTE_0
	v_lshlrev_b32_sdwa v32, v2, v28 dst_sel:DWORD dst_unused:UNUSED_PAD src0_sel:DWORD src1_sel:BYTE_1
	v_lshlrev_b32_sdwa v27, v2, v28 dst_sel:DWORD dst_unused:UNUSED_PAD src0_sel:DWORD src1_sel:BYTE_2
	v_mul_f16_sdwa v28, v1, v51 dst_sel:DWORD dst_unused:UNUSED_PAD src0_sel:DWORD src1_sel:WORD_1
	v_fma_f16 v1, v1, v51, v30
	v_fma_f16 v28, v50, v51, -v28
	v_lshlrev_b32_sdwa v30, v2, v5 dst_sel:DWORD dst_unused:UNUSED_PAD src0_sel:DWORD src1_sel:BYTE_0
	global_load_dword v43, v31, s[16:17]
	global_load_dword v47, v32, s[16:17] offset:1024
	global_load_dword v50, v27, s[16:17] offset:2048
	global_load_dword v51, v30, s[16:17]
	s_waitcnt vmcnt(7)
	v_mul_f16_sdwa v27, v1, v44 dst_sel:DWORD dst_unused:UNUSED_PAD src0_sel:DWORD src1_sel:WORD_1
	v_fma_f16 v30, v44, v28, -v27
	v_mul_f16_sdwa v27, v28, v44 dst_sel:DWORD dst_unused:UNUSED_PAD src0_sel:DWORD src1_sel:WORD_1
	v_fma_f16 v1, v44, v1, v27
	v_mul_f16_e32 v27, v29, v1
	v_fma_f16 v27, v0, v30, v27
	v_mul_f16_e32 v0, v0, v1
	v_fma_f16 v28, v29, v30, -v0
	v_add_u32_e32 v1, 0x50, v33
	v_mul_lo_u32 v1, v3, v1
	v_lshlrev_b32_sdwa v31, v2, v5 dst_sel:DWORD dst_unused:UNUSED_PAD src0_sel:DWORD src1_sel:BYTE_1
	s_waitcnt vmcnt(6)
	v_lshrrev_b32_e32 v0, 16, v41
	s_waitcnt vmcnt(5)
	v_mul_f16_sdwa v30, v41, v42 dst_sel:DWORD dst_unused:UNUSED_PAD src0_sel:DWORD src1_sel:WORD_1
	v_mul_f16_sdwa v29, v0, v42 dst_sel:DWORD dst_unused:UNUSED_PAD src0_sel:DWORD src1_sel:WORD_1
	v_fma_f16 v0, v0, v42, v30
	v_fma_f16 v29, v41, v42, -v29
	s_waitcnt vmcnt(4)
	v_mul_f16_sdwa v30, v0, v46 dst_sel:DWORD dst_unused:UNUSED_PAD src0_sel:DWORD src1_sel:WORD_1
	v_fma_f16 v30, v46, v29, -v30
	v_mul_f16_sdwa v29, v29, v46 dst_sel:DWORD dst_unused:UNUSED_PAD src0_sel:DWORD src1_sel:WORD_1
	v_fma_f16 v0, v46, v0, v29
	v_add_u32_e32 v29, 0x78, v33
	v_mul_lo_u32 v33, v3, v29
	v_mul_f16_e32 v29, v7, v0
	v_mul_f16_e32 v0, v34, v0
	v_fma_f16 v29, v34, v30, v29
	v_fma_f16 v30, v7, v30, -v0
	v_or_b32_e32 v7, 32, v9
	v_mul_lo_u16_e32 v34, 13, v7
	v_lshrrev_b16_e32 v34, 9, v34
	v_mul_lo_u16_e32 v34, 40, v34
	v_sub_u16_e32 v34, v7, v34
	v_and_b32_e32 v34, 0xff, v34
	v_mul_lo_u32 v36, v3, v34
	v_lshlrev_b32_sdwa v5, v2, v5 dst_sel:DWORD dst_unused:UNUSED_PAD src0_sel:DWORD src1_sel:BYTE_2
	v_lshlrev_b32_sdwa v32, v2, v1 dst_sel:DWORD dst_unused:UNUSED_PAD src0_sel:DWORD src1_sel:BYTE_0
	v_lshlrev_b32_sdwa v35, v2, v1 dst_sel:DWORD dst_unused:UNUSED_PAD src0_sel:DWORD src1_sel:BYTE_1
	v_lshlrev_b32_sdwa v1, v2, v1 dst_sel:DWORD dst_unused:UNUSED_PAD src0_sel:DWORD src1_sel:BYTE_2
	global_load_dword v44, v31, s[16:17] offset:1024
	v_lshlrev_b32_sdwa v0, v2, v33 dst_sel:DWORD dst_unused:UNUSED_PAD src0_sel:DWORD src1_sel:BYTE_1
	global_load_dword v5, v5, s[16:17] offset:2048
	v_lshlrev_b32_sdwa v31, v2, v33 dst_sel:DWORD dst_unused:UNUSED_PAD src0_sel:DWORD src1_sel:BYTE_0
	v_lshlrev_b32_sdwa v33, v2, v33 dst_sel:DWORD dst_unused:UNUSED_PAD src0_sel:DWORD src1_sel:BYTE_2
	global_load_dword v46, v32, s[16:17]
	global_load_dword v53, v35, s[16:17] offset:1024
	global_load_dword v54, v1, s[16:17] offset:2048
	global_load_dword v56, v31, s[16:17]
	global_load_dword v57, v0, s[16:17] offset:1024
	global_load_dword v58, v33, s[16:17] offset:2048
	v_lshlrev_b32_sdwa v0, v2, v36 dst_sel:DWORD dst_unused:UNUSED_PAD src0_sel:DWORD src1_sel:BYTE_0
	v_lshlrev_b32_sdwa v1, v2, v36 dst_sel:DWORD dst_unused:UNUSED_PAD src0_sel:DWORD src1_sel:BYTE_1
	v_add_u32_e32 v31, 40, v34
	v_lshlrev_b32_sdwa v32, v2, v36 dst_sel:DWORD dst_unused:UNUSED_PAD src0_sel:DWORD src1_sel:BYTE_2
	v_add_u32_e32 v33, 0x50, v34
	v_add_u32_e32 v36, 0x78, v34
	v_mul_lo_u32 v31, v3, v31
	v_mul_lo_u32 v33, v3, v33
	;; [unrolled: 1-line block ×3, first 2 shown]
	v_sub_f16_e32 v52, v45, v52
	v_lshlrev_b32_sdwa v35, v2, v31 dst_sel:DWORD dst_unused:UNUSED_PAD src0_sel:DWORD src1_sel:BYTE_0
	v_lshlrev_b32_sdwa v37, v2, v31 dst_sel:DWORD dst_unused:UNUSED_PAD src0_sel:DWORD src1_sel:BYTE_1
	v_lshlrev_b32_sdwa v31, v2, v31 dst_sel:DWORD dst_unused:UNUSED_PAD src0_sel:DWORD src1_sel:BYTE_2
	v_lshlrev_b32_sdwa v59, v2, v33 dst_sel:DWORD dst_unused:UNUSED_PAD src0_sel:DWORD src1_sel:BYTE_0
	v_lshlrev_b32_sdwa v60, v2, v33 dst_sel:DWORD dst_unused:UNUSED_PAD src0_sel:DWORD src1_sel:BYTE_1
	v_lshlrev_b32_sdwa v61, v2, v33 dst_sel:DWORD dst_unused:UNUSED_PAD src0_sel:DWORD src1_sel:BYTE_2
	;; [unrolled: 3-line block ×3, first 2 shown]
	v_mul_u32_u24_e32 v33, 3, v34
	v_lshlrev_b32_e32 v64, 2, v33
	global_load_dword v41, v0, s[16:17]
	global_load_dword v42, v1, s[16:17] offset:1024
	global_load_dword v40, v32, s[16:17] offset:2048
	global_load_dword v38, v35, s[16:17]
	global_load_dword v39, v37, s[16:17] offset:1024
	global_load_dword v36, v31, s[16:17] offset:2048
	global_load_dword v34, v59, s[16:17]
                                        ; kill: killed $vgpr0
                                        ; kill: killed $vgpr31
                                        ; kill: killed $vgpr37
                                        ; kill: killed $vgpr35
                                        ; kill: killed $vgpr32
                                        ; kill: killed $vgpr59
                                        ; kill: killed $vgpr1
	s_nop 0
	global_load_dword v37, v60, s[16:17] offset:1024
	global_load_dword v35, v61, s[16:17] offset:2048
	global_load_dword v32, v62, s[16:17]
	global_load_dword v33, v63, s[16:17] offset:1024
	global_load_dword v31, v2, s[16:17] offset:2048
                                        ; kill: killed $vgpr63
                                        ; kill: killed $vgpr62
                                        ; kill: killed $sgpr16_sgpr17
                                        ; kill: killed $vgpr61
                                        ; kill: killed $vgpr60
                                        ; kill: killed $vgpr2
	s_nop 0
	global_load_dwordx3 v[0:2], v64, s[28:29] offset:144
	s_waitcnt lgkmcnt(0)
	v_sub_f16_e32 v6, v21, v6
	v_sub_f16_e32 v49, v55, v49
	v_fma_f16 v45, v45, 2.0, -v52
	v_fma_f16 v55, v55, 2.0, -v49
	s_waitcnt vmcnt(24)
	v_lshrrev_b32_e32 v59, 16, v43
	s_waitcnt vmcnt(23)
	v_mul_f16_sdwa v60, v59, v47 dst_sel:DWORD dst_unused:UNUSED_PAD src0_sel:DWORD src1_sel:WORD_1
	v_fma_f16 v60, v43, v47, -v60
	v_mul_f16_sdwa v43, v43, v47 dst_sel:DWORD dst_unused:UNUSED_PAD src0_sel:DWORD src1_sel:WORD_1
	v_fma_f16 v43, v59, v47, v43
	s_waitcnt vmcnt(22)
	v_mul_f16_sdwa v47, v43, v50 dst_sel:DWORD dst_unused:UNUSED_PAD src0_sel:DWORD src1_sel:WORD_1
	v_mul_f16_sdwa v59, v60, v50 dst_sel:DWORD dst_unused:UNUSED_PAD src0_sel:DWORD src1_sel:WORD_1
	v_fma_f16 v47, v50, v60, -v47
	v_fma_f16 v43, v50, v43, v59
	v_lshrrev_b32_e32 v50, 16, v21
	v_sub_f16_e32 v48, v50, v48
	v_fma_f16 v50, v50, 2.0, -v48
	v_fma_f16 v21, v21, 2.0, -v6
	v_sub_f16_e32 v59, v50, v45
	v_sub_f16_e32 v55, v21, v55
	v_fma_f16 v50, v50, 2.0, -v59
	v_fma_f16 v21, v21, 2.0, -v55
	v_mul_f16_e32 v45, v50, v43
	v_fma_f16 v45, v21, v47, v45
	v_mul_f16_e32 v21, v21, v43
	v_fma_f16 v47, v50, v47, -v21
	s_waitcnt vmcnt(21)
	v_lshrrev_b32_e32 v21, 16, v51
	s_waitcnt vmcnt(20)
	v_mul_f16_sdwa v43, v21, v44 dst_sel:DWORD dst_unused:UNUSED_PAD src0_sel:DWORD src1_sel:WORD_1
	v_mul_f16_sdwa v50, v51, v44 dst_sel:DWORD dst_unused:UNUSED_PAD src0_sel:DWORD src1_sel:WORD_1
	v_fma_f16 v43, v51, v44, -v43
	v_fma_f16 v21, v21, v44, v50
	v_sub_f16_e32 v51, v48, v49
	v_fma_f16 v44, v48, 2.0, -v51
	s_waitcnt vmcnt(19)
	v_mul_f16_sdwa v48, v21, v5 dst_sel:DWORD dst_unused:UNUSED_PAD src0_sel:DWORD src1_sel:WORD_1
	v_add_f16_e32 v50, v6, v52
	v_fma_f16 v49, v5, v43, -v48
	v_mul_f16_sdwa v43, v43, v5 dst_sel:DWORD dst_unused:UNUSED_PAD src0_sel:DWORD src1_sel:WORD_1
	v_fma_f16 v6, v6, 2.0, -v50
	v_fma_f16 v5, v5, v21, v43
	v_mul_f16_e32 v21, v44, v5
	v_mul_f16_e32 v5, v6, v5
	v_fma_f16 v48, v6, v49, v21
	v_fma_f16 v49, v44, v49, -v5
	s_waitcnt vmcnt(18)
	v_lshrrev_b32_e32 v5, 16, v46
	s_waitcnt vmcnt(17)
	v_mul_f16_sdwa v21, v46, v53 dst_sel:DWORD dst_unused:UNUSED_PAD src0_sel:DWORD src1_sel:WORD_1
	v_mul_f16_sdwa v6, v5, v53 dst_sel:DWORD dst_unused:UNUSED_PAD src0_sel:DWORD src1_sel:WORD_1
	v_fma_f16 v5, v5, v53, v21
	v_fma_f16 v6, v46, v53, -v6
	s_waitcnt vmcnt(16)
	v_mul_f16_sdwa v21, v5, v54 dst_sel:DWORD dst_unused:UNUSED_PAD src0_sel:DWORD src1_sel:WORD_1
	v_fma_f16 v43, v54, v6, -v21
	v_mul_f16_sdwa v6, v6, v54 dst_sel:DWORD dst_unused:UNUSED_PAD src0_sel:DWORD src1_sel:WORD_1
	v_fma_f16 v5, v54, v5, v6
	v_mul_f16_e32 v6, v59, v5
	v_mul_f16_e32 v5, v55, v5
	v_fma_f16 v21, v55, v43, v6
	v_fma_f16 v43, v59, v43, -v5
	s_waitcnt vmcnt(15)
	v_lshrrev_b32_e32 v5, 16, v56
	s_waitcnt vmcnt(14)
	v_mul_f16_sdwa v44, v56, v57 dst_sel:DWORD dst_unused:UNUSED_PAD src0_sel:DWORD src1_sel:WORD_1
	v_mul_f16_sdwa v6, v5, v57 dst_sel:DWORD dst_unused:UNUSED_PAD src0_sel:DWORD src1_sel:WORD_1
	v_fma_f16 v5, v5, v57, v44
	v_fma_f16 v6, v56, v57, -v6
	s_waitcnt vmcnt(13)
	v_mul_f16_sdwa v44, v5, v58 dst_sel:DWORD dst_unused:UNUSED_PAD src0_sel:DWORD src1_sel:WORD_1
	v_fma_f16 v46, v58, v6, -v44
	v_mul_f16_sdwa v6, v6, v58 dst_sel:DWORD dst_unused:UNUSED_PAD src0_sel:DWORD src1_sel:WORD_1
	v_fma_f16 v5, v58, v5, v6
	v_mul_f16_e32 v6, v51, v5
	v_mul_f16_e32 v5, v50, v5
	v_fma_f16 v44, v50, v46, v6
	v_fma_f16 v46, v51, v46, -v5
	s_cbranch_vccnz .LBB0_32
; %bb.31:
	v_mad_u64_u32 v[5:6], s[6:7], s10, v11, 0
	v_mad_u64_u32 v[50:51], s[6:7], s8, v9, 0
	;; [unrolled: 1-line block ×3, first 2 shown]
	v_mov_b32_e32 v6, v51
	v_mad_u64_u32 v[53:54], s[6:7], s9, v9, v[6:7]
	v_mov_b32_e32 v6, v52
	s_lshl_b64 s[6:7], s[4:5], 2
	s_add_u32 s1, s14, s6
	v_lshlrev_b64 v[5:6], 2, v[5:6]
	s_addc_u32 s6, s15, s7
	v_mov_b32_e32 v52, s6
	v_add_co_u32_e32 v5, vcc, s1, v5
	v_mov_b32_e32 v51, v53
	v_addc_co_u32_e32 v6, vcc, v52, v6, vcc
	v_mad_u64_u32 v[52:53], s[6:7], s8, v10, 0
	v_lshlrev_b64 v[50:51], 2, v[50:51]
	s_mov_b32 s12, 0x5040100
	v_mad_u64_u32 v[53:54], s[6:7], s9, v10, v[53:54]
	v_add_co_u32_e32 v50, vcc, v5, v50
	v_addc_co_u32_e32 v51, vcc, v6, v51, vcc
	v_perm_b32 v54, v22, v8, s12
	global_store_dword v[50:51], v54, off
	v_lshlrev_b64 v[50:51], 2, v[52:53]
	v_mad_u64_u32 v[52:53], s[6:7], s8, v23, 0
	v_add_co_u32_e32 v50, vcc, v5, v50
	v_mad_u64_u32 v[53:54], s[6:7], s9, v23, v[53:54]
	v_mad_u64_u32 v[54:55], s[6:7], s8, v25, 0
	v_addc_co_u32_e32 v51, vcc, v6, v51, vcc
	v_perm_b32 v56, v26, v24, s12
	v_mov_b32_e32 v23, v55
	global_store_dword v[50:51], v56, off
	v_lshlrev_b64 v[50:51], 2, v[52:53]
	v_mad_u64_u32 v[52:53], s[6:7], s9, v25, v[23:24]
	v_mad_u32_u24 v25, v20, s0, v12
	v_add_co_u32_e32 v50, vcc, v5, v50
	v_mov_b32_e32 v55, v52
	v_mad_u64_u32 v[52:53], s[0:1], s8, v25, 0
	v_addc_co_u32_e32 v51, vcc, v6, v51, vcc
	v_perm_b32 v23, v28, v27, s12
	global_store_dword v[50:51], v23, off
	v_mov_b32_e32 v23, v53
	v_lshlrev_b64 v[50:51], 2, v[54:55]
	v_mad_u64_u32 v[53:54], s[0:1], s9, v25, v[23:24]
	v_add_u32_e32 v57, 40, v25
	v_mad_u64_u32 v[54:55], s[0:1], s8, v57, 0
	v_add_co_u32_e32 v50, vcc, v5, v50
	v_addc_co_u32_e32 v51, vcc, v6, v51, vcc
	v_perm_b32 v56, v30, v29, s12
	v_mov_b32_e32 v23, v55
	global_store_dword v[50:51], v56, off
	v_lshlrev_b64 v[50:51], 2, v[52:53]
	v_mad_u64_u32 v[52:53], s[0:1], s9, v57, v[23:24]
	v_add_co_u32_e32 v50, vcc, v5, v50
	v_addc_co_u32_e32 v51, vcc, v6, v51, vcc
	v_perm_b32 v23, v47, v45, s12
	v_mov_b32_e32 v55, v52
	global_store_dword v[50:51], v23, off
	v_lshlrev_b64 v[50:51], 2, v[54:55]
	v_add_u32_e32 v54, 0x50, v25
	v_mad_u64_u32 v[52:53], s[0:1], s8, v54, 0
	v_add_u32_e32 v25, 0x78, v25
	v_add_co_u32_e32 v50, vcc, v5, v50
	v_mov_b32_e32 v23, v53
	v_mad_u64_u32 v[53:54], s[0:1], s9, v54, v[23:24]
	v_mad_u64_u32 v[54:55], s[0:1], s8, v25, 0
	v_addc_co_u32_e32 v51, vcc, v6, v51, vcc
	v_perm_b32 v56, v49, v48, s12
	v_mov_b32_e32 v23, v55
	global_store_dword v[50:51], v56, off
	v_lshlrev_b64 v[50:51], 2, v[52:53]
	v_mad_u64_u32 v[52:53], s[0:1], s9, v25, v[23:24]
	v_add_co_u32_e32 v50, vcc, v5, v50
	v_addc_co_u32_e32 v51, vcc, v6, v51, vcc
	v_perm_b32 v23, v43, v21, s12
	v_mov_b32_e32 v55, v52
	global_store_dword v[50:51], v23, off
	v_lshlrev_b64 v[50:51], 2, v[54:55]
	v_perm_b32 v23, v46, v44, s12
	v_add_co_u32_e32 v50, vcc, v5, v50
	v_addc_co_u32_e32 v51, vcc, v6, v51, vcc
	s_and_b64 s[0:1], s[2:3], exec
	global_store_dword v[50:51], v23, off
	s_cbranch_execz .LBB0_33
	s_branch .LBB0_36
.LBB0_32:
	s_mov_b64 s[0:1], 0
                                        ; implicit-def: $vgpr5_vgpr6
.LBB0_33:
	v_cmp_gt_u64_e32 vcc, s[24:25], v[3:4]
                                        ; implicit-def: $vgpr5_vgpr6
	s_and_saveexec_b64 s[6:7], vcc
	s_cbranch_execz .LBB0_35
; %bb.34:
	v_mad_u64_u32 v[3:4], s[12:13], s10, v11, 0
	v_mad_u64_u32 v[50:51], s[12:13], s8, v9, 0
	;; [unrolled: 1-line block ×3, first 2 shown]
	v_mov_b32_e32 v5, v51
	v_mad_u64_u32 v[5:6], s[10:11], s9, v9, v[5:6]
	s_lshl_b64 s[4:5], s[4:5], 2
	s_add_u32 s4, s14, s4
	v_lshlrev_b64 v[3:4], 2, v[3:4]
	s_addc_u32 s5, s15, s5
	v_mov_b32_e32 v51, v5
	v_mov_b32_e32 v6, s5
	v_add_co_u32_e32 v5, vcc, s4, v3
	v_addc_co_u32_e32 v6, vcc, v6, v4, vcc
	v_lshlrev_b64 v[3:4], 2, v[50:51]
	v_mad_u64_u32 v[50:51], s[4:5], s8, v10, 0
	s_mov_b32 s10, 0x5040100
	v_perm_b32 v25, v22, v8, s10
	v_mov_b32_e32 v8, v51
	v_mad_u64_u32 v[10:11], s[4:5], s9, v10, v[8:9]
	v_add_u32_e32 v11, 0x50, v9
	v_mad_u64_u32 v[22:23], s[4:5], s8, v11, 0
	v_add_co_u32_e32 v3, vcc, v5, v3
	v_mov_b32_e32 v8, v23
	v_addc_co_u32_e32 v4, vcc, v6, v4, vcc
	v_mov_b32_e32 v51, v10
	v_mad_u64_u32 v[10:11], s[4:5], s9, v11, v[8:9]
	global_store_dword v[3:4], v25, off
	v_lshlrev_b64 v[3:4], 2, v[50:51]
	v_perm_b32 v8, v26, v24, s10
	v_add_co_u32_e32 v3, vcc, v5, v3
	v_addc_co_u32_e32 v4, vcc, v6, v4, vcc
	v_mov_b32_e32 v23, v10
	global_store_dword v[3:4], v8, off
	v_lshlrev_b64 v[3:4], 2, v[22:23]
	v_add_u32_e32 v22, 0x78, v9
	v_mad_u64_u32 v[10:11], s[4:5], s8, v22, 0
	v_add_co_u32_e32 v3, vcc, v5, v3
	v_mov_b32_e32 v8, v11
	v_mad_u64_u32 v[22:23], s[4:5], s9, v22, v[8:9]
	s_movk_i32 s4, 0x78
	v_addc_co_u32_e32 v4, vcc, v6, v4, vcc
	v_perm_b32 v8, v28, v27, s10
	v_mov_b32_e32 v11, v22
	v_mad_u32_u24 v20, v20, s4, v12
	global_store_dword v[3:4], v8, off
	v_lshlrev_b64 v[3:4], 2, v[10:11]
	v_mad_u64_u32 v[10:11], s[4:5], s8, v20, 0
	v_add_co_u32_e32 v3, vcc, v5, v3
	v_mov_b32_e32 v8, v11
	v_mad_u64_u32 v[11:12], s[4:5], s9, v20, v[8:9]
	v_add_u32_e32 v12, 40, v20
	v_mad_u64_u32 v[22:23], s[4:5], s8, v12, 0
	v_addc_co_u32_e32 v4, vcc, v6, v4, vcc
	v_perm_b32 v24, v30, v29, s10
	v_mov_b32_e32 v8, v23
	global_store_dword v[3:4], v24, off
	v_lshlrev_b64 v[3:4], 2, v[10:11]
	v_mad_u64_u32 v[10:11], s[4:5], s9, v12, v[8:9]
	v_add_u32_e32 v12, 0x50, v20
	v_add_co_u32_e32 v3, vcc, v5, v3
	v_mov_b32_e32 v23, v10
	v_mad_u64_u32 v[10:11], s[4:5], s8, v12, 0
	v_addc_co_u32_e32 v4, vcc, v6, v4, vcc
	v_perm_b32 v8, v47, v45, s10
	global_store_dword v[3:4], v8, off
	v_mov_b32_e32 v8, v11
	v_mad_u64_u32 v[11:12], s[4:5], s9, v12, v[8:9]
	v_add_u32_e32 v12, 0x78, v20
	v_lshlrev_b64 v[3:4], 2, v[22:23]
	v_mad_u64_u32 v[22:23], s[4:5], s8, v12, 0
	v_add_co_u32_e32 v3, vcc, v5, v3
	v_addc_co_u32_e32 v4, vcc, v6, v4, vcc
	v_perm_b32 v24, v49, v48, s10
	v_mov_b32_e32 v8, v23
	global_store_dword v[3:4], v24, off
	v_lshlrev_b64 v[3:4], 2, v[10:11]
	v_mad_u64_u32 v[10:11], s[4:5], s9, v12, v[8:9]
	v_add_co_u32_e32 v3, vcc, v5, v3
	v_addc_co_u32_e32 v4, vcc, v6, v4, vcc
	v_perm_b32 v8, v43, v21, s10
	v_mov_b32_e32 v23, v10
	global_store_dword v[3:4], v8, off
	v_lshlrev_b64 v[3:4], 2, v[22:23]
	s_andn2_b64 s[0:1], s[0:1], exec
	v_add_co_u32_e32 v3, vcc, v5, v3
	s_and_b64 s[2:3], s[2:3], exec
	v_addc_co_u32_e32 v4, vcc, v6, v4, vcc
	v_perm_b32 v8, v46, v44, s10
	s_or_b64 s[0:1], s[0:1], s[2:3]
	global_store_dword v[3:4], v8, off
.LBB0_35:
	s_or_b64 exec, exec, s[6:7]
.LBB0_36:
	s_and_saveexec_b64 s[2:3], s[0:1]
	s_cbranch_execnz .LBB0_38
; %bb.37:
	s_endpgm
.LBB0_38:
	s_waitcnt vmcnt(0)
	v_mul_f16_sdwa v3, v19, v0 dst_sel:DWORD dst_unused:UNUSED_PAD src0_sel:DWORD src1_sel:WORD_1
	v_mul_f16_sdwa v4, v18, v0 dst_sel:DWORD dst_unused:UNUSED_PAD src0_sel:DWORD src1_sel:WORD_1
	v_fma_f16 v3, v18, v0, v3
	v_fma_f16 v0, v19, v0, -v4
	v_lshrrev_b32_e32 v4, 16, v15
	v_mul_f16_sdwa v8, v4, v1 dst_sel:DWORD dst_unused:UNUSED_PAD src0_sel:DWORD src1_sel:WORD_1
	v_mul_f16_sdwa v10, v15, v1 dst_sel:DWORD dst_unused:UNUSED_PAD src0_sel:DWORD src1_sel:WORD_1
	v_fma_f16 v8, v15, v1, v8
	v_fma_f16 v1, v4, v1, -v10
	v_mul_f16_sdwa v4, v14, v2 dst_sel:DWORD dst_unused:UNUSED_PAD src0_sel:DWORD src1_sel:WORD_1
	v_mul_f16_sdwa v10, v13, v2 dst_sel:DWORD dst_unused:UNUSED_PAD src0_sel:DWORD src1_sel:WORD_1
	v_fma_f16 v4, v13, v2, v4
	v_fma_f16 v2, v14, v2, -v10
	v_lshrrev_b32_e32 v12, 16, v41
	v_mul_f16_sdwa v14, v41, v42 dst_sel:DWORD dst_unused:UNUSED_PAD src0_sel:DWORD src1_sel:WORD_1
	v_sub_f16_e32 v1, v17, v1
	v_sub_f16_e32 v2, v0, v2
	v_mul_f16_sdwa v13, v12, v42 dst_sel:DWORD dst_unused:UNUSED_PAD src0_sel:DWORD src1_sel:WORD_1
	v_fma_f16 v12, v12, v42, v14
	v_sub_f16_e32 v8, v16, v8
	v_fma_f16 v11, v17, 2.0, -v1
	v_sub_f16_e32 v4, v3, v4
	v_fma_f16 v0, v0, 2.0, -v2
	v_fma_f16 v13, v41, v42, -v13
	v_mul_f16_sdwa v14, v12, v40 dst_sel:DWORD dst_unused:UNUSED_PAD src0_sel:DWORD src1_sel:WORD_1
	v_fma_f16 v10, v16, 2.0, -v8
	v_fma_f16 v3, v3, 2.0, -v4
	v_sub_f16_e32 v0, v11, v0
	v_fma_f16 v14, v40, v13, -v14
	v_mul_f16_sdwa v13, v13, v40 dst_sel:DWORD dst_unused:UNUSED_PAD src0_sel:DWORD src1_sel:WORD_1
	v_sub_f16_e32 v3, v10, v3
	v_fma_f16 v11, v11, 2.0, -v0
	v_fma_f16 v12, v40, v12, v13
	v_fma_f16 v10, v10, 2.0, -v3
	v_mul_f16_e32 v13, v11, v12
	v_fma_f16 v13, v10, v14, v13
	v_mul_f16_e32 v10, v10, v12
	v_fma_f16 v10, v11, v14, -v10
	v_lshrrev_b32_e32 v11, 16, v38
	v_mul_f16_sdwa v14, v38, v39 dst_sel:DWORD dst_unused:UNUSED_PAD src0_sel:DWORD src1_sel:WORD_1
	v_mul_f16_sdwa v12, v11, v39 dst_sel:DWORD dst_unused:UNUSED_PAD src0_sel:DWORD src1_sel:WORD_1
	v_fma_f16 v11, v11, v39, v14
	v_fma_f16 v12, v38, v39, -v12
	v_mul_f16_sdwa v14, v11, v36 dst_sel:DWORD dst_unused:UNUSED_PAD src0_sel:DWORD src1_sel:WORD_1
	v_sub_f16_e32 v4, v1, v4
	v_fma_f16 v14, v36, v12, -v14
	v_mul_f16_sdwa v12, v12, v36 dst_sel:DWORD dst_unused:UNUSED_PAD src0_sel:DWORD src1_sel:WORD_1
	v_add_f16_e32 v2, v8, v2
	v_fma_f16 v1, v1, 2.0, -v4
	v_fma_f16 v11, v36, v11, v12
	v_fma_f16 v8, v8, 2.0, -v2
	v_mul_f16_e32 v12, v1, v11
	v_fma_f16 v12, v8, v14, v12
	v_mul_f16_e32 v8, v8, v11
	v_fma_f16 v8, v1, v14, -v8
	v_lshrrev_b32_e32 v1, 16, v34
	v_mul_f16_sdwa v14, v34, v37 dst_sel:DWORD dst_unused:UNUSED_PAD src0_sel:DWORD src1_sel:WORD_1
	v_mul_f16_sdwa v11, v1, v37 dst_sel:DWORD dst_unused:UNUSED_PAD src0_sel:DWORD src1_sel:WORD_1
	v_fma_f16 v1, v1, v37, v14
	v_fma_f16 v11, v34, v37, -v11
	v_mul_f16_sdwa v14, v1, v35 dst_sel:DWORD dst_unused:UNUSED_PAD src0_sel:DWORD src1_sel:WORD_1
	v_fma_f16 v14, v35, v11, -v14
	v_mul_f16_sdwa v11, v11, v35 dst_sel:DWORD dst_unused:UNUSED_PAD src0_sel:DWORD src1_sel:WORD_1
	v_fma_f16 v1, v35, v1, v11
	v_mul_f16_e32 v11, v0, v1
	v_mul_f16_e32 v1, v3, v1
	v_fma_f16 v11, v3, v14, v11
	v_fma_f16 v14, v0, v14, -v1
	v_lshrrev_b32_e32 v0, 16, v32
	v_mul_f16_sdwa v3, v32, v33 dst_sel:DWORD dst_unused:UNUSED_PAD src0_sel:DWORD src1_sel:WORD_1
	v_mul_f16_sdwa v1, v0, v33 dst_sel:DWORD dst_unused:UNUSED_PAD src0_sel:DWORD src1_sel:WORD_1
	v_fma_f16 v0, v0, v33, v3
	v_fma_f16 v1, v32, v33, -v1
	v_mul_f16_sdwa v3, v0, v31 dst_sel:DWORD dst_unused:UNUSED_PAD src0_sel:DWORD src1_sel:WORD_1
	v_fma_f16 v15, v31, v1, -v3
	v_mul_f16_sdwa v1, v1, v31 dst_sel:DWORD dst_unused:UNUSED_PAD src0_sel:DWORD src1_sel:WORD_1
	v_fma_f16 v3, v31, v0, v1
	v_mad_u64_u32 v[0:1], s[0:1], s8, v7, 0
	v_mul_f16_e32 v16, v4, v3
	v_fma_f16 v16, v2, v15, v16
	v_mul_f16_e32 v17, v2, v3
	v_mad_u64_u32 v[1:2], s[0:1], s9, v7, v[1:2]
	v_add_u32_e32 v7, 0x48, v9
	v_mad_u64_u32 v[2:3], s[0:1], s8, v7, 0
	v_lshlrev_b64 v[0:1], 2, v[0:1]
	v_fma_f16 v15, v4, v15, -v17
	v_mad_u64_u32 v[3:4], s[0:1], s9, v7, v[3:4]
	v_add_co_u32_e32 v0, vcc, v5, v0
	v_addc_co_u32_e32 v1, vcc, v6, v1, vcc
	v_pack_b32_f16 v4, v13, v10
	global_store_dword v[0:1], v4, off
	v_or_b32_e32 v4, 0x70, v9
	v_lshlrev_b64 v[0:1], 2, v[2:3]
	v_mad_u64_u32 v[2:3], s[0:1], s8, v4, 0
	v_pack_b32_f16 v10, v12, v8
	v_add_co_u32_e32 v0, vcc, v5, v0
	v_mad_u64_u32 v[3:4], s[0:1], s9, v4, v[3:4]
	v_add_u32_e32 v4, 0x98, v9
	v_mad_u64_u32 v[7:8], s[0:1], s8, v4, 0
	v_addc_co_u32_e32 v1, vcc, v6, v1, vcc
	global_store_dword v[0:1], v10, off
	v_lshlrev_b64 v[0:1], 2, v[2:3]
	v_mov_b32_e32 v2, v8
	v_mad_u64_u32 v[2:3], s[0:1], s9, v4, v[2:3]
	v_add_co_u32_e32 v0, vcc, v5, v0
	v_addc_co_u32_e32 v1, vcc, v6, v1, vcc
	v_pack_b32_f16 v3, v11, v14
	v_mov_b32_e32 v8, v2
	global_store_dword v[0:1], v3, off
	v_lshlrev_b64 v[0:1], 2, v[7:8]
	v_pack_b32_f16 v2, v16, v15
	v_add_co_u32_e32 v0, vcc, v5, v0
	v_addc_co_u32_e32 v1, vcc, v6, v1, vcc
	global_store_dword v[0:1], v2, off
	s_endpgm
	.section	.rodata,"a",@progbits
	.p2align	6, 0x0
	.amdhsa_kernel fft_rtc_back_len160_factors_4_10_4_wgs_192_tpt_16_half_op_CI_CI_sbcc_twdbase8_3step_dirReg
		.amdhsa_group_segment_fixed_size 0
		.amdhsa_private_segment_fixed_size 0
		.amdhsa_kernarg_size 112
		.amdhsa_user_sgpr_count 6
		.amdhsa_user_sgpr_private_segment_buffer 1
		.amdhsa_user_sgpr_dispatch_ptr 0
		.amdhsa_user_sgpr_queue_ptr 0
		.amdhsa_user_sgpr_kernarg_segment_ptr 1
		.amdhsa_user_sgpr_dispatch_id 0
		.amdhsa_user_sgpr_flat_scratch_init 0
		.amdhsa_user_sgpr_private_segment_size 0
		.amdhsa_uses_dynamic_stack 0
		.amdhsa_system_sgpr_private_segment_wavefront_offset 0
		.amdhsa_system_sgpr_workgroup_id_x 1
		.amdhsa_system_sgpr_workgroup_id_y 0
		.amdhsa_system_sgpr_workgroup_id_z 0
		.amdhsa_system_sgpr_workgroup_info 0
		.amdhsa_system_vgpr_workitem_id 0
		.amdhsa_next_free_vgpr 65
		.amdhsa_next_free_sgpr 57
		.amdhsa_reserve_vcc 1
		.amdhsa_reserve_flat_scratch 0
		.amdhsa_float_round_mode_32 0
		.amdhsa_float_round_mode_16_64 0
		.amdhsa_float_denorm_mode_32 3
		.amdhsa_float_denorm_mode_16_64 3
		.amdhsa_dx10_clamp 1
		.amdhsa_ieee_mode 1
		.amdhsa_fp16_overflow 0
		.amdhsa_exception_fp_ieee_invalid_op 0
		.amdhsa_exception_fp_denorm_src 0
		.amdhsa_exception_fp_ieee_div_zero 0
		.amdhsa_exception_fp_ieee_overflow 0
		.amdhsa_exception_fp_ieee_underflow 0
		.amdhsa_exception_fp_ieee_inexact 0
		.amdhsa_exception_int_div_zero 0
	.end_amdhsa_kernel
	.text
.Lfunc_end0:
	.size	fft_rtc_back_len160_factors_4_10_4_wgs_192_tpt_16_half_op_CI_CI_sbcc_twdbase8_3step_dirReg, .Lfunc_end0-fft_rtc_back_len160_factors_4_10_4_wgs_192_tpt_16_half_op_CI_CI_sbcc_twdbase8_3step_dirReg
                                        ; -- End function
	.section	.AMDGPU.csdata,"",@progbits
; Kernel info:
; codeLenInByte = 9392
; NumSgprs: 61
; NumVgprs: 65
; ScratchSize: 0
; MemoryBound: 0
; FloatMode: 240
; IeeeMode: 1
; LDSByteSize: 0 bytes/workgroup (compile time only)
; SGPRBlocks: 7
; VGPRBlocks: 16
; NumSGPRsForWavesPerEU: 61
; NumVGPRsForWavesPerEU: 65
; Occupancy: 3
; WaveLimiterHint : 1
; COMPUTE_PGM_RSRC2:SCRATCH_EN: 0
; COMPUTE_PGM_RSRC2:USER_SGPR: 6
; COMPUTE_PGM_RSRC2:TRAP_HANDLER: 0
; COMPUTE_PGM_RSRC2:TGID_X_EN: 1
; COMPUTE_PGM_RSRC2:TGID_Y_EN: 0
; COMPUTE_PGM_RSRC2:TGID_Z_EN: 0
; COMPUTE_PGM_RSRC2:TIDIG_COMP_CNT: 0
	.type	__hip_cuid_f6d290c3cdce04d6,@object ; @__hip_cuid_f6d290c3cdce04d6
	.section	.bss,"aw",@nobits
	.globl	__hip_cuid_f6d290c3cdce04d6
__hip_cuid_f6d290c3cdce04d6:
	.byte	0                               ; 0x0
	.size	__hip_cuid_f6d290c3cdce04d6, 1

	.ident	"AMD clang version 19.0.0git (https://github.com/RadeonOpenCompute/llvm-project roc-6.4.0 25133 c7fe45cf4b819c5991fe208aaa96edf142730f1d)"
	.section	".note.GNU-stack","",@progbits
	.addrsig
	.addrsig_sym __hip_cuid_f6d290c3cdce04d6
	.amdgpu_metadata
---
amdhsa.kernels:
  - .args:
      - .actual_access:  read_only
        .address_space:  global
        .offset:         0
        .size:           8
        .value_kind:     global_buffer
      - .address_space:  global
        .offset:         8
        .size:           8
        .value_kind:     global_buffer
      - .offset:         16
        .size:           8
        .value_kind:     by_value
      - .actual_access:  read_only
        .address_space:  global
        .offset:         24
        .size:           8
        .value_kind:     global_buffer
      - .actual_access:  read_only
        .address_space:  global
        .offset:         32
        .size:           8
        .value_kind:     global_buffer
      - .actual_access:  read_only
        .address_space:  global
        .offset:         40
        .size:           8
        .value_kind:     global_buffer
      - .offset:         48
        .size:           8
        .value_kind:     by_value
      - .actual_access:  read_only
        .address_space:  global
        .offset:         56
        .size:           8
        .value_kind:     global_buffer
      - .actual_access:  read_only
        .address_space:  global
        .offset:         64
        .size:           8
        .value_kind:     global_buffer
      - .offset:         72
        .size:           4
        .value_kind:     by_value
      - .actual_access:  read_only
        .address_space:  global
        .offset:         80
        .size:           8
        .value_kind:     global_buffer
      - .actual_access:  read_only
        .address_space:  global
        .offset:         88
        .size:           8
        .value_kind:     global_buffer
      - .actual_access:  read_only
        .address_space:  global
        .offset:         96
        .size:           8
        .value_kind:     global_buffer
      - .actual_access:  write_only
        .address_space:  global
        .offset:         104
        .size:           8
        .value_kind:     global_buffer
    .group_segment_fixed_size: 0
    .kernarg_segment_align: 8
    .kernarg_segment_size: 112
    .language:       OpenCL C
    .language_version:
      - 2
      - 0
    .max_flat_workgroup_size: 192
    .name:           fft_rtc_back_len160_factors_4_10_4_wgs_192_tpt_16_half_op_CI_CI_sbcc_twdbase8_3step_dirReg
    .private_segment_fixed_size: 0
    .sgpr_count:     61
    .sgpr_spill_count: 0
    .symbol:         fft_rtc_back_len160_factors_4_10_4_wgs_192_tpt_16_half_op_CI_CI_sbcc_twdbase8_3step_dirReg.kd
    .uniform_work_group_size: 1
    .uses_dynamic_stack: false
    .vgpr_count:     65
    .vgpr_spill_count: 0
    .wavefront_size: 64
amdhsa.target:   amdgcn-amd-amdhsa--gfx906
amdhsa.version:
  - 1
  - 2
...

	.end_amdgpu_metadata
